;; amdgpu-corpus repo=ROCm/rocFFT kind=compiled arch=gfx1030 opt=O3
	.text
	.amdgcn_target "amdgcn-amd-amdhsa--gfx1030"
	.amdhsa_code_object_version 6
	.protected	fft_rtc_back_len1092_factors_2_2_13_7_3_wgs_52_tpt_52_halfLds_half_ip_CI_sbrr_dirReg ; -- Begin function fft_rtc_back_len1092_factors_2_2_13_7_3_wgs_52_tpt_52_halfLds_half_ip_CI_sbrr_dirReg
	.globl	fft_rtc_back_len1092_factors_2_2_13_7_3_wgs_52_tpt_52_halfLds_half_ip_CI_sbrr_dirReg
	.p2align	8
	.type	fft_rtc_back_len1092_factors_2_2_13_7_3_wgs_52_tpt_52_halfLds_half_ip_CI_sbrr_dirReg,@function
fft_rtc_back_len1092_factors_2_2_13_7_3_wgs_52_tpt_52_halfLds_half_ip_CI_sbrr_dirReg: ; @fft_rtc_back_len1092_factors_2_2_13_7_3_wgs_52_tpt_52_halfLds_half_ip_CI_sbrr_dirReg
; %bb.0:
	s_clause 0x2
	s_load_dwordx2 s[14:15], s[4:5], 0x18
	s_load_dwordx4 s[8:11], s[4:5], 0x0
	s_load_dwordx2 s[12:13], s[4:5], 0x50
	v_mul_u32_u24_e32 v1, 0x4ed, v0
	v_mov_b32_e32 v3, 0
	v_add_nc_u32_sdwa v5, s6, v1 dst_sel:DWORD dst_unused:UNUSED_PAD src0_sel:DWORD src1_sel:WORD_1
	v_mov_b32_e32 v1, 0
	v_mov_b32_e32 v6, v3
	v_mov_b32_e32 v2, 0
	s_waitcnt lgkmcnt(0)
	s_load_dwordx2 s[2:3], s[14:15], 0x0
	v_cmp_lt_u64_e64 s0, s[10:11], 2
	s_and_b32 vcc_lo, exec_lo, s0
	s_cbranch_vccnz .LBB0_8
; %bb.1:
	s_load_dwordx2 s[0:1], s[4:5], 0x10
	v_mov_b32_e32 v1, 0
	s_add_u32 s6, s14, 8
	v_mov_b32_e32 v2, 0
	s_addc_u32 s7, s15, 0
	s_mov_b64 s[18:19], 1
	s_waitcnt lgkmcnt(0)
	s_add_u32 s16, s0, 8
	s_addc_u32 s17, s1, 0
.LBB0_2:                                ; =>This Inner Loop Header: Depth=1
	s_load_dwordx2 s[20:21], s[16:17], 0x0
                                        ; implicit-def: $vgpr7_vgpr8
	s_mov_b32 s0, exec_lo
	s_waitcnt lgkmcnt(0)
	v_or_b32_e32 v4, s21, v6
	v_cmpx_ne_u64_e32 0, v[3:4]
	s_xor_b32 s1, exec_lo, s0
	s_cbranch_execz .LBB0_4
; %bb.3:                                ;   in Loop: Header=BB0_2 Depth=1
	v_cvt_f32_u32_e32 v4, s20
	v_cvt_f32_u32_e32 v7, s21
	s_sub_u32 s0, 0, s20
	s_subb_u32 s22, 0, s21
	v_fmac_f32_e32 v4, 0x4f800000, v7
	v_rcp_f32_e32 v4, v4
	v_mul_f32_e32 v4, 0x5f7ffffc, v4
	v_mul_f32_e32 v7, 0x2f800000, v4
	v_trunc_f32_e32 v7, v7
	v_fmac_f32_e32 v4, 0xcf800000, v7
	v_cvt_u32_f32_e32 v7, v7
	v_cvt_u32_f32_e32 v4, v4
	v_mul_lo_u32 v8, s0, v7
	v_mul_hi_u32 v9, s0, v4
	v_mul_lo_u32 v10, s22, v4
	v_add_nc_u32_e32 v8, v9, v8
	v_mul_lo_u32 v9, s0, v4
	v_add_nc_u32_e32 v8, v8, v10
	v_mul_hi_u32 v10, v4, v9
	v_mul_lo_u32 v11, v4, v8
	v_mul_hi_u32 v12, v4, v8
	v_mul_hi_u32 v13, v7, v9
	v_mul_lo_u32 v9, v7, v9
	v_mul_hi_u32 v14, v7, v8
	v_mul_lo_u32 v8, v7, v8
	v_add_co_u32 v10, vcc_lo, v10, v11
	v_add_co_ci_u32_e32 v11, vcc_lo, 0, v12, vcc_lo
	v_add_co_u32 v9, vcc_lo, v10, v9
	v_add_co_ci_u32_e32 v9, vcc_lo, v11, v13, vcc_lo
	v_add_co_ci_u32_e32 v10, vcc_lo, 0, v14, vcc_lo
	v_add_co_u32 v8, vcc_lo, v9, v8
	v_add_co_ci_u32_e32 v9, vcc_lo, 0, v10, vcc_lo
	v_add_co_u32 v4, vcc_lo, v4, v8
	v_add_co_ci_u32_e32 v7, vcc_lo, v7, v9, vcc_lo
	v_mul_hi_u32 v8, s0, v4
	v_mul_lo_u32 v10, s22, v4
	v_mul_lo_u32 v9, s0, v7
	v_add_nc_u32_e32 v8, v8, v9
	v_mul_lo_u32 v9, s0, v4
	v_add_nc_u32_e32 v8, v8, v10
	v_mul_hi_u32 v10, v4, v9
	v_mul_lo_u32 v11, v4, v8
	v_mul_hi_u32 v12, v4, v8
	v_mul_hi_u32 v13, v7, v9
	v_mul_lo_u32 v9, v7, v9
	v_mul_hi_u32 v14, v7, v8
	v_mul_lo_u32 v8, v7, v8
	v_add_co_u32 v10, vcc_lo, v10, v11
	v_add_co_ci_u32_e32 v11, vcc_lo, 0, v12, vcc_lo
	v_add_co_u32 v9, vcc_lo, v10, v9
	v_add_co_ci_u32_e32 v9, vcc_lo, v11, v13, vcc_lo
	v_add_co_ci_u32_e32 v10, vcc_lo, 0, v14, vcc_lo
	v_add_co_u32 v8, vcc_lo, v9, v8
	v_add_co_ci_u32_e32 v9, vcc_lo, 0, v10, vcc_lo
	v_add_co_u32 v4, vcc_lo, v4, v8
	v_add_co_ci_u32_e32 v11, vcc_lo, v7, v9, vcc_lo
	v_mul_hi_u32 v13, v5, v4
	v_mad_u64_u32 v[9:10], null, v6, v4, 0
	v_mad_u64_u32 v[7:8], null, v5, v11, 0
	;; [unrolled: 1-line block ×3, first 2 shown]
	v_add_co_u32 v4, vcc_lo, v13, v7
	v_add_co_ci_u32_e32 v7, vcc_lo, 0, v8, vcc_lo
	v_add_co_u32 v4, vcc_lo, v4, v9
	v_add_co_ci_u32_e32 v4, vcc_lo, v7, v10, vcc_lo
	v_add_co_ci_u32_e32 v7, vcc_lo, 0, v12, vcc_lo
	v_add_co_u32 v4, vcc_lo, v4, v11
	v_add_co_ci_u32_e32 v9, vcc_lo, 0, v7, vcc_lo
	v_mul_lo_u32 v10, s21, v4
	v_mad_u64_u32 v[7:8], null, s20, v4, 0
	v_mul_lo_u32 v11, s20, v9
	v_sub_co_u32 v7, vcc_lo, v5, v7
	v_add3_u32 v8, v8, v11, v10
	v_sub_nc_u32_e32 v10, v6, v8
	v_subrev_co_ci_u32_e64 v10, s0, s21, v10, vcc_lo
	v_add_co_u32 v11, s0, v4, 2
	v_add_co_ci_u32_e64 v12, s0, 0, v9, s0
	v_sub_co_u32 v13, s0, v7, s20
	v_sub_co_ci_u32_e32 v8, vcc_lo, v6, v8, vcc_lo
	v_subrev_co_ci_u32_e64 v10, s0, 0, v10, s0
	v_cmp_le_u32_e32 vcc_lo, s20, v13
	v_cmp_eq_u32_e64 s0, s21, v8
	v_cndmask_b32_e64 v13, 0, -1, vcc_lo
	v_cmp_le_u32_e32 vcc_lo, s21, v10
	v_cndmask_b32_e64 v14, 0, -1, vcc_lo
	v_cmp_le_u32_e32 vcc_lo, s20, v7
	;; [unrolled: 2-line block ×3, first 2 shown]
	v_cndmask_b32_e64 v15, 0, -1, vcc_lo
	v_cmp_eq_u32_e32 vcc_lo, s21, v10
	v_cndmask_b32_e64 v7, v15, v7, s0
	v_cndmask_b32_e32 v10, v14, v13, vcc_lo
	v_add_co_u32 v13, vcc_lo, v4, 1
	v_add_co_ci_u32_e32 v14, vcc_lo, 0, v9, vcc_lo
	v_cmp_ne_u32_e32 vcc_lo, 0, v10
	v_cndmask_b32_e32 v8, v14, v12, vcc_lo
	v_cndmask_b32_e32 v10, v13, v11, vcc_lo
	v_cmp_ne_u32_e32 vcc_lo, 0, v7
	v_cndmask_b32_e32 v8, v9, v8, vcc_lo
	v_cndmask_b32_e32 v7, v4, v10, vcc_lo
.LBB0_4:                                ;   in Loop: Header=BB0_2 Depth=1
	s_andn2_saveexec_b32 s0, s1
	s_cbranch_execz .LBB0_6
; %bb.5:                                ;   in Loop: Header=BB0_2 Depth=1
	v_cvt_f32_u32_e32 v4, s20
	s_sub_i32 s1, 0, s20
	v_rcp_iflag_f32_e32 v4, v4
	v_mul_f32_e32 v4, 0x4f7ffffe, v4
	v_cvt_u32_f32_e32 v4, v4
	v_mul_lo_u32 v7, s1, v4
	v_mul_hi_u32 v7, v4, v7
	v_add_nc_u32_e32 v4, v4, v7
	v_mul_hi_u32 v4, v5, v4
	v_mul_lo_u32 v7, v4, s20
	v_add_nc_u32_e32 v8, 1, v4
	v_sub_nc_u32_e32 v7, v5, v7
	v_subrev_nc_u32_e32 v9, s20, v7
	v_cmp_le_u32_e32 vcc_lo, s20, v7
	v_cndmask_b32_e32 v7, v7, v9, vcc_lo
	v_cndmask_b32_e32 v4, v4, v8, vcc_lo
	v_cmp_le_u32_e32 vcc_lo, s20, v7
	v_add_nc_u32_e32 v8, 1, v4
	v_cndmask_b32_e32 v7, v4, v8, vcc_lo
	v_mov_b32_e32 v8, v3
.LBB0_6:                                ;   in Loop: Header=BB0_2 Depth=1
	s_or_b32 exec_lo, exec_lo, s0
	s_load_dwordx2 s[0:1], s[6:7], 0x0
	v_mul_lo_u32 v4, v8, s20
	v_mul_lo_u32 v11, v7, s21
	v_mad_u64_u32 v[9:10], null, v7, s20, 0
	s_add_u32 s18, s18, 1
	s_addc_u32 s19, s19, 0
	s_add_u32 s6, s6, 8
	s_addc_u32 s7, s7, 0
	;; [unrolled: 2-line block ×3, first 2 shown]
	v_add3_u32 v4, v10, v11, v4
	v_sub_co_u32 v5, vcc_lo, v5, v9
	v_sub_co_ci_u32_e32 v4, vcc_lo, v6, v4, vcc_lo
	s_waitcnt lgkmcnt(0)
	v_mul_lo_u32 v6, s1, v5
	v_mul_lo_u32 v4, s0, v4
	v_mad_u64_u32 v[1:2], null, s0, v5, v[1:2]
	v_cmp_ge_u64_e64 s0, s[18:19], s[10:11]
	s_and_b32 vcc_lo, exec_lo, s0
	v_add3_u32 v2, v6, v2, v4
	s_cbranch_vccnz .LBB0_9
; %bb.7:                                ;   in Loop: Header=BB0_2 Depth=1
	v_mov_b32_e32 v5, v7
	v_mov_b32_e32 v6, v8
	s_branch .LBB0_2
.LBB0_8:
	v_mov_b32_e32 v8, v6
	v_mov_b32_e32 v7, v5
.LBB0_9:
	s_lshl_b64 s[0:1], s[10:11], 3
	v_mul_hi_u32 v3, 0x4ec4ec5, v0
	s_add_u32 s0, s14, s0
	s_addc_u32 s1, s15, s1
	s_load_dwordx2 s[4:5], s[4:5], 0x20
	s_load_dwordx2 s[0:1], s[0:1], 0x0
                                        ; implicit-def: $vgpr23
                                        ; implicit-def: $vgpr15
                                        ; implicit-def: $vgpr22
                                        ; implicit-def: $vgpr20
                                        ; implicit-def: $vgpr14
                                        ; implicit-def: $vgpr38
                                        ; implicit-def: $vgpr11
                                        ; implicit-def: $vgpr10
                                        ; implicit-def: $vgpr9
	v_mul_u32_u24_e32 v3, 52, v3
	v_sub_nc_u32_e32 v34, v0, v3
	v_add_nc_u32_e32 v33, 52, v34
	v_add_nc_u32_e32 v32, 0x68, v34
	;; [unrolled: 1-line block ×5, first 2 shown]
	s_waitcnt lgkmcnt(0)
	v_cmp_gt_u64_e32 vcc_lo, s[4:5], v[7:8]
	v_mul_lo_u32 v3, s0, v8
	v_mul_lo_u32 v4, s1, v7
	v_mad_u64_u32 v[0:1], null, s0, v7, v[1:2]
	v_cmp_le_u64_e64 s0, s[4:5], v[7:8]
	v_add_nc_u32_e32 v28, 0x138, v34
	v_add_nc_u32_e32 v37, 0x16c, v34
	;; [unrolled: 1-line block ×4, first 2 shown]
                                        ; implicit-def: $sgpr4
	v_add3_u32 v1, v4, v1, v3
	s_and_saveexec_b32 s1, s0
	s_xor_b32 s0, exec_lo, s1
; %bb.10:
	v_add_nc_u32_e32 v23, 52, v34
	v_add_nc_u32_e32 v15, 0x68, v34
	;; [unrolled: 1-line block ×9, first 2 shown]
	s_mov_b32 s4, 0
; %bb.11:
	s_or_saveexec_b32 s1, s0
	v_lshlrev_b64 v[12:13], 2, v[0:1]
	v_mov_b32_e32 v6, s4
	v_mov_b32_e32 v19, s4
                                        ; implicit-def: $vgpr24
                                        ; implicit-def: $vgpr0
                                        ; implicit-def: $vgpr26
                                        ; implicit-def: $vgpr3
                                        ; implicit-def: $vgpr17
                                        ; implicit-def: $vgpr1
                                        ; implicit-def: $vgpr27
                                        ; implicit-def: $vgpr5
                                        ; implicit-def: $vgpr25
                                        ; implicit-def: $vgpr2
                                        ; implicit-def: $vgpr42
                                        ; implicit-def: $vgpr7
                                        ; implicit-def: $vgpr41
                                        ; implicit-def: $vgpr4
                                        ; implicit-def: $vgpr44
                                        ; implicit-def: $vgpr8
                                        ; implicit-def: $vgpr43
                                        ; implicit-def: $vgpr18
                                        ; implicit-def: $vgpr47
                                        ; implicit-def: $vgpr53
                                        ; implicit-def: $vgpr46
                                        ; implicit-def: $vgpr16
                                        ; implicit-def: $vgpr49
                                        ; implicit-def: $vgpr56
                                        ; implicit-def: $vgpr45
                                        ; implicit-def: $vgpr39
                                        ; implicit-def: $vgpr50
                                        ; implicit-def: $vgpr58
                                        ; implicit-def: $vgpr48
                                        ; implicit-def: $vgpr40
                                        ; implicit-def: $vgpr52
                                        ; implicit-def: $vgpr59
                                        ; implicit-def: $vgpr51
                                        ; implicit-def: $vgpr57
                                        ; implicit-def: $vgpr55
                                        ; implicit-def: $vgpr61
                                        ; implicit-def: $vgpr54
                                        ; implicit-def: $vgpr60
                                        ; implicit-def: $vgpr62
                                        ; implicit-def: $vgpr63
                                        ; implicit-def: $vgpr21
                                        ; implicit-def: $vgpr64
	s_xor_b32 exec_lo, exec_lo, s1
	s_cbranch_execz .LBB0_15
; %bb.12:
	v_add_nc_u32_e32 v8, 0x222, v34
	v_mad_u64_u32 v[0:1], null, s2, v34, 0
	v_mad_u64_u32 v[4:5], null, s2, v33, 0
	;; [unrolled: 1-line block ×3, first 2 shown]
	v_add_nc_u32_e32 v11, 0x256, v34
	v_add_co_u32 v9, s0, s12, v12
	v_add_co_ci_u32_e64 v10, s0, s13, v13, s0
	v_mad_u64_u32 v[14:15], null, s2, v11, 0
	v_mad_u64_u32 v[6:7], null, s3, v34, v[1:2]
	v_mov_b32_e32 v1, v3
	v_mov_b32_e32 v3, v5
	v_add_nc_u32_e32 v25, 0x2be, v34
	s_mov_b32 s4, exec_lo
                                        ; implicit-def: $vgpr64
	v_mad_u64_u32 v[7:8], null, s3, v8, v[1:2]
	v_mov_b32_e32 v1, v6
	v_mad_u64_u32 v[5:6], null, s3, v33, v[3:4]
	v_mov_b32_e32 v6, v15
	;; [unrolled: 2-line block ×3, first 2 shown]
	v_mad_u64_u32 v[7:8], null, s2, v32, 0
	v_lshlrev_b64 v[0:1], 2, v[0:1]
	v_lshlrev_b64 v[4:5], 2, v[4:5]
	;; [unrolled: 1-line block ×3, first 2 shown]
	v_mad_u64_u32 v[15:16], null, s3, v11, v[6:7]
	v_add_nc_u32_e32 v11, 0x28a, v34
	v_mov_b32_e32 v6, v8
	v_add_co_u32 v0, s0, v9, v0
	v_add_co_ci_u32_e64 v1, s0, v10, v1, s0
	v_mad_u64_u32 v[16:17], null, s2, v11, 0
	v_mad_u64_u32 v[18:19], null, s3, v32, v[6:7]
	v_mad_u64_u32 v[19:20], null, s2, v31, 0
	v_add_co_u32 v2, s0, v9, v2
	v_mov_b32_e32 v6, v17
	v_lshlrev_b64 v[14:15], 2, v[14:15]
	v_mov_b32_e32 v8, v18
	v_add_co_ci_u32_e64 v3, s0, v10, v3, s0
	v_mad_u64_u32 v[17:18], null, s3, v11, v[6:7]
	v_lshlrev_b64 v[7:8], 2, v[7:8]
	v_mov_b32_e32 v6, v20
	v_add_co_u32 v4, s0, v9, v4
	v_add_co_ci_u32_e64 v5, s0, v10, v5, s0
	v_add_co_u32 v14, s0, v9, v14
	v_mad_u64_u32 v[23:24], null, s3, v31, v[6:7]
	v_add_co_ci_u32_e64 v15, s0, v10, v15, s0
	v_mov_b32_e32 v6, v22
	v_add_co_u32 v7, s0, v9, v7
	v_add_nc_u32_e32 v11, 0x2f2, v34
	v_mov_b32_e32 v20, v23
	v_lshlrev_b64 v[16:17], 2, v[16:17]
	v_mad_u64_u32 v[22:23], null, s3, v25, v[6:7]
	v_mad_u64_u32 v[23:24], null, s2, v30, 0
	v_mad_u64_u32 v[25:26], null, s2, v11, 0
	v_lshlrev_b64 v[18:19], 2, v[19:20]
	v_add_co_ci_u32_e64 v8, s0, v10, v8, s0
	v_add_co_u32 v16, s0, v9, v16
	v_mov_b32_e32 v6, v24
	v_lshlrev_b64 v[20:21], 2, v[21:22]
	v_add_co_ci_u32_e64 v17, s0, v10, v17, s0
	v_add_co_u32 v18, s0, v9, v18
	v_mad_u64_u32 v[38:39], null, s3, v30, v[6:7]
	v_mov_b32_e32 v6, v26
	v_add_co_ci_u32_e64 v19, s0, v10, v19, s0
	v_add_co_u32 v20, s0, v9, v20
	v_add_co_ci_u32_e64 v21, s0, v10, v21, s0
	v_mad_u64_u32 v[26:27], null, s3, v11, v[6:7]
	s_clause 0x7
	global_load_dword v0, v[0:1], off
	global_load_dword v3, v[2:3], off
	;; [unrolled: 1-line block ×8, first 2 shown]
	v_mov_b32_e32 v24, v38
	v_mad_u64_u32 v[38:39], null, s2, v29, 0
	v_add_nc_u32_e32 v11, 0x326, v34
	v_mad_u64_u32 v[21:22], null, s2, v28, 0
	v_lshlrev_b64 v[14:15], 2, v[23:24]
	v_mad_u64_u32 v[16:17], null, s2, v11, 0
	v_mov_b32_e32 v6, v39
	v_add_co_u32 v14, s0, v9, v14
	v_add_co_ci_u32_e64 v15, s0, v10, v15, s0
	s_waitcnt vmcnt(2)
	v_mad_u64_u32 v[18:19], null, s3, v29, v[6:7]
	v_mov_b32_e32 v6, v17
	v_lshlrev_b64 v[19:20], 2, v[25:26]
	v_mov_b32_e32 v39, v18
	v_mad_u64_u32 v[17:18], null, s3, v11, v[6:7]
	v_add_nc_u32_e32 v11, 0x35a, v34
	v_mov_b32_e32 v6, v22
	v_lshlrev_b64 v[22:23], 2, v[38:39]
	v_add_co_u32 v19, s0, v9, v19
	v_mad_u64_u32 v[24:25], null, s2, v11, 0
	v_mad_u64_u32 v[26:27], null, s3, v28, v[6:7]
	v_lshlrev_b64 v[16:17], 2, v[16:17]
	v_add_co_ci_u32_e64 v20, s0, v10, v20, s0
	v_add_co_u32 v38, s0, v9, v22
	v_mov_b32_e32 v6, v25
	v_mov_b32_e32 v22, v26
	v_mad_u64_u32 v[26:27], null, s2, v37, 0
	v_add_co_ci_u32_e64 v39, s0, v10, v23, s0
	v_mad_u64_u32 v[40:41], null, s3, v11, v[6:7]
	v_add_nc_u32_e32 v11, 0x38e, v34
	v_add_co_u32 v41, s0, v9, v16
	v_add_co_ci_u32_e64 v42, s0, v10, v17, s0
	v_lshlrev_b64 v[16:17], 2, v[21:22]
	v_mad_u64_u32 v[21:22], null, s2, v11, 0
	v_mov_b32_e32 v6, v27
	v_mov_b32_e32 v25, v40
	v_add_nc_u32_e32 v18, 0x3c2, v34
	v_add_co_u32 v46, s0, v9, v16
	v_mad_u64_u32 v[43:44], null, s3, v37, v[6:7]
	v_mov_b32_e32 v6, v22
	v_mad_u64_u32 v[44:45], null, s2, v35, 0
	v_add_co_ci_u32_e64 v47, s0, v10, v17, s0
	v_mad_u64_u32 v[22:23], null, s3, v11, v[6:7]
	v_lshlrev_b64 v[16:17], 2, v[24:25]
	v_mad_u64_u32 v[23:24], null, s2, v18, 0
	v_mov_b32_e32 v27, v43
	v_mov_b32_e32 v6, v45
	v_add_nc_u32_e32 v11, 0x3f6, v34
	v_add_co_u32 v48, s0, v9, v16
	v_add_co_ci_u32_e64 v49, s0, v10, v17, s0
	v_lshlrev_b64 v[16:17], 2, v[26:27]
	v_mad_u64_u32 v[25:26], null, s3, v35, v[6:7]
	v_mov_b32_e32 v6, v24
	v_mad_u64_u32 v[26:27], null, s2, v36, 0
	v_add_co_u32 v54, s0, v9, v16
	v_mad_u64_u32 v[50:51], null, s3, v18, v[6:7]
	v_mad_u64_u32 v[51:52], null, s2, v11, 0
	v_mov_b32_e32 v6, v27
	v_add_co_ci_u32_e64 v55, s0, v10, v17, s0
	v_lshlrev_b64 v[16:17], 2, v[21:22]
	v_mov_b32_e32 v45, v25
	v_mad_u64_u32 v[21:22], null, s3, v36, v[6:7]
	v_mov_b32_e32 v6, v52
	v_mov_b32_e32 v24, v50
	v_add_co_u32 v59, s0, v9, v16
	v_add_co_ci_u32_e64 v60, s0, v10, v17, s0
	v_lshlrev_b64 v[16:17], 2, v[44:45]
	v_mad_u64_u32 v[43:44], null, s3, v11, v[6:7]
	v_mov_b32_e32 v27, v21
	v_lshlrev_b64 v[22:23], 2, v[23:24]
	v_mov_b32_e32 v6, 0
	v_add_co_u32 v24, s0, v9, v16
	v_add_co_ci_u32_e64 v25, s0, v10, v17, s0
	v_mov_b32_e32 v52, v43
	v_lshlrev_b64 v[16:17], 2, v[26:27]
	v_add_co_u32 v21, s0, v9, v22
	v_add_co_ci_u32_e64 v22, s0, v10, v23, s0
	v_lshlrev_b64 v[26:27], 2, v[51:52]
	v_add_co_u32 v43, s0, v9, v16
	v_add_co_ci_u32_e64 v44, s0, v10, v17, s0
	v_add_co_u32 v26, s0, v9, v26
	v_add_co_ci_u32_e64 v27, s0, v10, v27, s0
	s_clause 0xb
	global_load_dword v18, v[14:15], off
	global_load_dword v53, v[19:20], off
	;; [unrolled: 1-line block ×12, first 2 shown]
	v_mov_b32_e32 v19, 0
                                        ; implicit-def: $vgpr21
	v_cmpx_gt_u32_e32 26, v34
	s_cbranch_execz .LBB0_14
; %bb.13:
	v_add_nc_u32_e32 v17, 0x208, v34
	v_add_nc_u32_e32 v22, 0x42a, v34
	v_mad_u64_u32 v[14:15], null, s2, v17, 0
	v_mad_u64_u32 v[19:20], null, s2, v22, 0
	v_mov_b32_e32 v6, v15
	v_mov_b32_e32 v11, v20
	v_mad_u64_u32 v[20:21], null, s3, v17, v[6:7]
	v_mad_u64_u32 v[21:22], null, s3, v22, v[11:12]
	v_mov_b32_e32 v15, v20
	v_mov_b32_e32 v20, v21
	v_lshlrev_b64 v[14:15], 2, v[14:15]
	v_lshlrev_b64 v[19:20], 2, v[19:20]
	v_add_co_u32 v14, s0, v9, v14
	v_add_co_ci_u32_e64 v15, s0, v10, v15, s0
	v_add_co_u32 v9, s0, v9, v19
	v_add_co_ci_u32_e64 v10, s0, v10, v20, s0
	s_clause 0x1
	global_load_dword v19, v[14:15], off
	global_load_dword v64, v[9:10], off
	s_waitcnt vmcnt(1)
	v_lshrrev_b32_e32 v6, 16, v19
	s_waitcnt vmcnt(0)
	v_lshrrev_b32_e32 v21, 16, v64
.LBB0_14:
	s_or_b32 exec_lo, exec_lo, s4
	v_lshrrev_b32_e32 v24, 16, v0
	v_lshrrev_b32_e32 v26, 16, v3
	;; [unrolled: 1-line block ×6, first 2 shown]
	s_waitcnt vmcnt(13)
	v_lshrrev_b32_e32 v41, 16, v4
	s_waitcnt vmcnt(12)
	v_lshrrev_b32_e32 v44, 16, v8
	;; [unrolled: 2-line block ×14, first 2 shown]
	v_mov_b32_e32 v9, v36
	v_mov_b32_e32 v10, v35
	v_mov_b32_e32 v11, v37
	v_mov_b32_e32 v38, v28
	v_mov_b32_e32 v14, v29
	v_mov_b32_e32 v20, v30
	v_mov_b32_e32 v22, v31
	v_mov_b32_e32 v15, v32
	v_mov_b32_e32 v23, v33
.LBB0_15:
	s_or_b32 exec_lo, exec_lo, s1
	v_sub_f16_e32 v3, v0, v3
	v_sub_f16_e32 v5, v1, v5
	v_sub_f16_e32 v7, v2, v7
	v_sub_f16_e32 v8, v4, v8
	v_sub_f16_e32 v53, v18, v53
	v_fma_f16 v65, v0, 2.0, -v3
	v_fma_f16 v1, v1, 2.0, -v5
	;; [unrolled: 1-line block ×3, first 2 shown]
	v_sub_f16_e32 v56, v16, v56
	v_fma_f16 v4, v4, 2.0, -v8
	v_sub_f16_e32 v58, v39, v58
	v_lshl_add_u32 v76, v34, 2, 0
	v_pack_b32_f16 v3, v65, v3
	v_fma_f16 v66, v18, 2.0, -v53
	v_sub_f16_e32 v59, v40, v59
	v_sub_f16_e32 v0, v19, v64
	v_lshl_add_u32 v78, v23, 2, 0
	v_pack_b32_f16 v1, v1, v5
	v_lshl_add_u32 v64, v15, 2, 0
	v_pack_b32_f16 v2, v2, v7
	v_sub_f16_e32 v61, v57, v61
	v_sub_f16_e32 v67, v60, v63
	v_fma_f16 v63, v16, 2.0, -v56
	v_fma_f16 v39, v39, 2.0, -v58
	ds_write_b32 v76, v3
	ds_write_b32 v78, v1
	v_lshlrev_b32_e32 v18, 1, v22
	v_lshl_add_u32 v72, v22, 2, 0
	v_pack_b32_f16 v1, v4, v8
	v_lshl_add_u32 v74, v14, 2, 0
	v_lshlrev_b32_e32 v22, 1, v14
	v_lshlrev_b32_e32 v14, 1, v38
	v_lshl_add_u32 v75, v38, 2, 0
	v_add_nc_u32_e32 v38, 0x208, v34
	v_fma_f16 v40, v40, 2.0, -v59
	ds_write_b32 v64, v2
	v_lshl_add_u32 v73, v20, 2, 0
	v_pack_b32_f16 v2, v66, v53
	v_fma_f16 v57, v57, 2.0, -v61
	v_pack_b32_f16 v3, v63, v56
	v_fma_f16 v60, v60, 2.0, -v67
	v_fma_f16 v19, v19, 2.0, -v0
	v_lshlrev_b32_e32 v16, 1, v15
	ds_write_b32 v72, v1
	v_lshlrev_b32_e32 v20, 1, v20
	v_pack_b32_f16 v1, v39, v58
	v_lshlrev_b32_e32 v53, 1, v11
	v_lshl_add_u32 v69, v11, 2, 0
	v_lshlrev_b32_e32 v56, 1, v10
	v_lshl_add_u32 v70, v10, 2, 0
	v_lshlrev_b32_e32 v63, 1, v9
	v_lshl_add_u32 v77, v9, 2, 0
	v_cmp_gt_u32_e64 s1, 26, v34
	v_lshl_add_u32 v79, v38, 2, 0
	ds_write_b32 v73, v2
	v_pack_b32_f16 v2, v40, v59
	ds_write_b32 v74, v3
	v_pack_b32_f16 v3, v57, v61
	v_pack_b32_f16 v4, v60, v67
	ds_write_b32 v75, v1
	ds_write_b32 v69, v2
	;; [unrolled: 1-line block ×4, first 2 shown]
	s_and_saveexec_b32 s0, s1
	s_cbranch_execz .LBB0_17
; %bb.16:
	v_perm_b32 v1, v0, v19, 0x5040100
	ds_write_b32 v79, v1
.LBB0_17:
	s_or_b32 exec_lo, exec_lo, s0
	v_lshl_add_u32 v39, v34, 1, 0
	v_sub_nc_u32_e32 v1, v64, v16
	v_sub_nc_u32_e32 v2, v72, v18
	;; [unrolled: 1-line block ×8, first 2 shown]
	s_waitcnt lgkmcnt(0)
	s_barrier
	buffer_gl0_inv
	v_lshl_add_u32 v40, v23, 1, 0
	ds_read_u16 v57, v1
	ds_read_u16 v58, v2
	;; [unrolled: 1-line block ×5, first 2 shown]
	ds_read_u16 v11, v39 offset:1092
	ds_read_u16 v10, v39 offset:1196
	;; [unrolled: 1-line block ×9, first 2 shown]
	ds_read_u16 v65, v9
	ds_read_u16 v66, v66
	ds_read_u16 v67, v67
	ds_read_u16 v68, v68
	ds_read_u16 v71, v40
	ds_read_u16 v9, v39 offset:2028
	s_and_saveexec_b32 s0, s1
	s_cbranch_execz .LBB0_19
; %bb.18:
	ds_read_u16 v19, v39 offset:1040
	ds_read_u16 v0, v39 offset:2132
.LBB0_19:
	s_or_b32 exec_lo, exec_lo, s0
	v_sub_f16_e32 v87, v24, v26
	v_sub_f16_e32 v27, v17, v27
	;; [unrolled: 1-line block ×5, first 2 shown]
	v_fma_f16 v24, v24, 2.0, -v87
	v_sub_f16_e32 v49, v46, v49
	v_fma_f16 v17, v17, 2.0, -v27
	v_sub_f16_e32 v50, v45, v50
	;; [unrolled: 2-line block ×6, first 2 shown]
	v_pack_b32_f16 v24, v24, v87
	v_fma_f16 v45, v45, 2.0, -v50
	v_pack_b32_f16 v17, v17, v27
	v_fma_f16 v48, v48, 2.0, -v52
	v_pack_b32_f16 v25, v25, v42
	v_fma_f16 v51, v51, 2.0, -v55
	v_pack_b32_f16 v27, v41, v44
	v_fma_f16 v54, v54, 2.0, -v62
	v_pack_b32_f16 v41, v43, v47
	v_sub_nc_u32_e32 v86, 0, v16
	v_sub_nc_u32_e32 v85, 0, v18
	;; [unrolled: 1-line block ×8, first 2 shown]
	v_fma_f16 v6, v6, 2.0, -v21
	s_waitcnt lgkmcnt(0)
	s_barrier
	buffer_gl0_inv
	ds_write_b32 v76, v24
	ds_write_b32 v78, v17
	;; [unrolled: 1-line block ×5, first 2 shown]
	v_pack_b32_f16 v17, v46, v49
	v_pack_b32_f16 v24, v45, v50
	;; [unrolled: 1-line block ×5, first 2 shown]
	ds_write_b32 v74, v17
	ds_write_b32 v75, v24
	;; [unrolled: 1-line block ×5, first 2 shown]
	s_and_saveexec_b32 s0, s1
	s_cbranch_execz .LBB0_21
; %bb.20:
	v_perm_b32 v17, v21, v6, 0x5040100
	ds_write_b32 v79, v17
.LBB0_21:
	s_or_b32 exec_lo, exec_lo, s0
	v_add_nc_u32_e32 v41, v64, v86
	v_add_nc_u32_e32 v42, v72, v85
	;; [unrolled: 1-line block ×7, first 2 shown]
	s_waitcnt lgkmcnt(0)
	s_barrier
	buffer_gl0_inv
	ds_read_u16 v27, v41
	ds_read_u16 v47, v42
	;; [unrolled: 1-line block ×5, first 2 shown]
	ds_read_u16 v95, v39 offset:1092
	ds_read_u16 v96, v39 offset:1196
	ds_read_u16 v72, v39 offset:1300
	ds_read_u16 v76, v39 offset:1404
	ds_read_u16 v81, v39 offset:1508
	ds_read_u16 v87, v39 offset:1612
	ds_read_u16 v93, v39 offset:1716
	v_add_nc_u32_e32 v17, v77, v26
	ds_read_u16 v69, v39 offset:1820
	ds_read_u16 v70, v39 offset:1924
	ds_read_u16 v51, v45
	ds_read_u16 v52, v46
	;; [unrolled: 1-line block ×5, first 2 shown]
	ds_read_u16 v94, v39 offset:2028
	v_lshlrev_b32_e32 v24, 1, v34
	v_lshlrev_b32_e32 v26, 1, v23
	s_and_saveexec_b32 s0, s1
	s_cbranch_execz .LBB0_23
; %bb.22:
	ds_read_u16 v6, v39 offset:1040
	ds_read_u16 v21, v39 offset:2132
.LBB0_23:
	s_or_b32 exec_lo, exec_lo, s0
	v_and_b32_e32 v50, 1, v34
	v_lshlrev_b32_e32 v103, 1, v38
	v_lshlrev_b32_e32 v25, 2, v50
	v_and_or_b32 v74, 0x1fc, v16, v50
	v_and_or_b32 v75, 0x1fc, v18, v50
	;; [unrolled: 1-line block ×4, first 2 shown]
	global_load_dword v97, v25, s[8:9]
	v_and_or_b32 v25, 0x7c, v24, v50
	v_and_or_b32 v79, 0x2fc, v14, v50
	v_and_or_b32 v53, 0x3fc, v53, v50
	v_and_or_b32 v56, 0x3fc, v56, v50
	v_and_or_b32 v73, 0xfc, v26, v50
	v_and_or_b32 v63, 0x7fc, v63, v50
	v_lshl_add_u32 v113, v25, 1, 0
	v_lshl_add_u32 v111, v74, 1, 0
	;; [unrolled: 1-line block ×10, first 2 shown]
	s_waitcnt vmcnt(0) lgkmcnt(0)
	s_barrier
	buffer_gl0_inv
	v_mul_f16_sdwa v25, v95, v97 dst_sel:DWORD dst_unused:UNUSED_PAD src0_sel:DWORD src1_sel:WORD_1
	v_mul_f16_sdwa v53, v96, v97 dst_sel:DWORD dst_unused:UNUSED_PAD src0_sel:DWORD src1_sel:WORD_1
	v_mul_f16_sdwa v56, v72, v97 dst_sel:DWORD dst_unused:UNUSED_PAD src0_sel:DWORD src1_sel:WORD_1
	v_mul_f16_sdwa v74, v87, v97 dst_sel:DWORD dst_unused:UNUSED_PAD src0_sel:DWORD src1_sel:WORD_1
	v_mul_f16_sdwa v75, v93, v97 dst_sel:DWORD dst_unused:UNUSED_PAD src0_sel:DWORD src1_sel:WORD_1
	v_mul_f16_sdwa v77, v69, v97 dst_sel:DWORD dst_unused:UNUSED_PAD src0_sel:DWORD src1_sel:WORD_1
	v_mul_f16_sdwa v78, v70, v97 dst_sel:DWORD dst_unused:UNUSED_PAD src0_sel:DWORD src1_sel:WORD_1
	v_mul_f16_sdwa v79, v94, v97 dst_sel:DWORD dst_unused:UNUSED_PAD src0_sel:DWORD src1_sel:WORD_1
	v_mul_f16_sdwa v80, v21, v97 dst_sel:DWORD dst_unused:UNUSED_PAD src0_sel:DWORD src1_sel:WORD_1
	v_mul_f16_sdwa v63, v76, v97 dst_sel:DWORD dst_unused:UNUSED_PAD src0_sel:DWORD src1_sel:WORD_1
	v_mul_f16_sdwa v73, v81, v97 dst_sel:DWORD dst_unused:UNUSED_PAD src0_sel:DWORD src1_sel:WORD_1
	v_fmac_f16_e32 v25, v11, v97
	v_fmac_f16_e32 v53, v10, v97
	;; [unrolled: 1-line block ×11, first 2 shown]
	v_sub_f16_e32 v82, v61, v25
	v_sub_f16_e32 v83, v71, v53
	;; [unrolled: 1-line block ×11, first 2 shown]
	v_fma_f16 v80, v61, 2.0, -v82
	v_fma_f16 v61, v66, 2.0, -v56
	;; [unrolled: 1-line block ×11, first 2 shown]
	ds_write_b16 v113, v82 offset:4
	ds_write_b16 v113, v80
	ds_write_b16 v112, v71
	ds_write_b16 v112, v83 offset:4
	ds_write_b16 v111, v57
	ds_write_b16 v111, v84 offset:4
	ds_write_b16 v110, v58
	ds_write_b16 v110, v63 offset:4
	ds_write_b16 v109, v59
	ds_write_b16 v109, v73 offset:4
	ds_write_b16 v108, v60
	ds_write_b16 v108, v85 offset:4
	ds_write_b16 v107, v65
	ds_write_b16 v107, v25 offset:4
	ds_write_b16 v106, v61
	ds_write_b16 v106, v56 offset:4
	ds_write_b16 v105, v79
	ds_write_b16 v105, v53 offset:4
	ds_write_b16 v104, v78
	ds_write_b16 v104, v75 offset:4
	s_and_saveexec_b32 s0, s1
	s_cbranch_execz .LBB0_25
; %bb.24:
	v_and_or_b32 v19, 0x47c, v103, v50
	v_lshl_add_u32 v19, v19, 1, 0
	ds_write_b16 v19, v77
	ds_write_b16 v19, v74 offset:4
.LBB0_25:
	s_or_b32 exec_lo, exec_lo, s0
	s_waitcnt lgkmcnt(0)
	s_barrier
	buffer_gl0_inv
	ds_read_u16 v66, v39
	ds_read_u16 v92, v39 offset:168
	ds_read_u16 v91, v39 offset:336
	;; [unrolled: 1-line block ×12, first 2 shown]
	v_cmp_gt_u32_e64 s0, 32, v34
                                        ; implicit-def: $vgpr84
                                        ; implicit-def: $vgpr86
                                        ; implicit-def: $vgpr88
                                        ; implicit-def: $vgpr89
	s_and_saveexec_b32 s4, s0
	s_cbranch_execz .LBB0_27
; %bb.26:
	ds_read_u16 v61, v39 offset:272
	ds_read_u16 v56, v39 offset:440
	;; [unrolled: 1-line block ×11, first 2 shown]
	ds_read_u16 v25, v40
	ds_read_u16 v84, v39 offset:2120
.LBB0_27:
	s_or_b32 exec_lo, exec_lo, s4
	v_mul_f16_sdwa v11, v11, v97 dst_sel:DWORD dst_unused:UNUSED_PAD src0_sel:DWORD src1_sel:WORD_1
	v_mul_f16_sdwa v5, v5, v97 dst_sel:DWORD dst_unused:UNUSED_PAD src0_sel:DWORD src1_sel:WORD_1
	;; [unrolled: 1-line block ×8, first 2 shown]
	v_fma_f16 v11, v95, v97, -v11
	v_mul_f16_sdwa v3, v3, v97 dst_sel:DWORD dst_unused:UNUSED_PAD src0_sel:DWORD src1_sel:WORD_1
	v_mul_f16_sdwa v1, v1, v97 dst_sel:DWORD dst_unused:UNUSED_PAD src0_sel:DWORD src1_sel:WORD_1
	;; [unrolled: 1-line block ×3, first 2 shown]
	v_fma_f16 v5, v69, v97, -v5
	v_fma_f16 v4, v70, v97, -v4
	;; [unrolled: 1-line block ×10, first 2 shown]
	v_sub_f16_e32 v11, v62, v11
	v_sub_f16_e32 v95, v52, v5
	;; [unrolled: 1-line block ×7, first 2 shown]
	v_fma_f16 v19, v62, 2.0, -v11
	v_sub_f16_e32 v7, v47, v7
	v_sub_f16_e32 v3, v48, v3
	;; [unrolled: 1-line block ×4, first 2 shown]
	v_fma_f16 v102, v52, 2.0, -v95
	v_fma_f16 v101, v54, 2.0, -v96
	;; [unrolled: 1-line block ×10, first 2 shown]
	s_waitcnt lgkmcnt(0)
	s_barrier
	buffer_gl0_inv
	ds_write_b16 v113, v19
	ds_write_b16 v113, v11 offset:4
	ds_write_b16 v112, v57
	ds_write_b16 v112, v10 offset:4
	;; [unrolled: 2-line block ×10, first 2 shown]
	s_and_saveexec_b32 s4, s1
	s_cbranch_execz .LBB0_29
; %bb.28:
	v_and_or_b32 v0, 0x47c, v103, v50
	v_lshl_add_u32 v0, v0, 1, 0
	ds_write_b16 v0, v99
	ds_write_b16 v0, v98 offset:4
.LBB0_29:
	s_or_b32 exec_lo, exec_lo, s4
	s_waitcnt lgkmcnt(0)
	s_barrier
	buffer_gl0_inv
	ds_read_u16 v48, v39
	ds_read_u16 v105, v39 offset:168
	ds_read_u16 v120, v39 offset:336
	;; [unrolled: 1-line block ×12, first 2 shown]
                                        ; implicit-def: $vgpr107
                                        ; implicit-def: $vgpr109
                                        ; implicit-def: $vgpr112
                                        ; implicit-def: $vgpr115
	s_and_saveexec_b32 s1, s0
	s_cbranch_execz .LBB0_31
; %bb.30:
	ds_read_u16 v102, v39 offset:272
	ds_read_u16 v95, v39 offset:440
	;; [unrolled: 1-line block ×11, first 2 shown]
	ds_read_u16 v21, v40
	ds_read_u16 v107, v39 offset:2120
.LBB0_31:
	s_or_b32 exec_lo, exec_lo, s1
	v_and_b32_e32 v19, 3, v34
	v_lshrrev_b32_e32 v27, 2, v34
	v_lshrrev_b32_e32 v23, 2, v23
	v_mul_u32_u24_e32 v0, 12, v19
	v_mul_u32_u24_e32 v27, 52, v27
	v_lshlrev_b32_e32 v8, 2, v0
	v_or_b32_e32 v27, v27, v19
	s_clause 0x2
	global_load_dwordx4 v[0:3], v8, s[8:9] offset:8
	global_load_dwordx4 v[4:7], v8, s[8:9] offset:24
	;; [unrolled: 1-line block ×3, first 2 shown]
	v_lshl_add_u32 v59, v27, 1, 0
	s_waitcnt vmcnt(0) lgkmcnt(0)
	s_barrier
	buffer_gl0_inv
	v_mul_f16_sdwa v103, v105, v0 dst_sel:DWORD dst_unused:UNUSED_PAD src0_sel:DWORD src1_sel:WORD_1
	v_mul_f16_sdwa v121, v92, v0 dst_sel:DWORD dst_unused:UNUSED_PAD src0_sel:DWORD src1_sel:WORD_1
	;; [unrolled: 1-line block ×39, first 2 shown]
	v_fmac_f16_e32 v103, v92, v0
	v_fma_f16 v105, v105, v0, -v121
	v_fmac_f16_e32 v93, v91, v1
	v_fma_f16 v92, v120, v1, -v122
	;; [unrolled: 2-line block ×11, first 2 shown]
	v_fma_f16 v83, v106, v11, -v132
	v_mul_f16_sdwa v54, v101, v2 dst_sel:DWORD dst_unused:UNUSED_PAD src0_sel:DWORD src1_sel:WORD_1
	v_mul_f16_sdwa v135, v79, v2 dst_sel:DWORD dst_unused:UNUSED_PAD src0_sel:DWORD src1_sel:WORD_1
	;; [unrolled: 1-line block ×9, first 2 shown]
	v_fmac_f16_e32 v104, v63, v11
	v_fmac_f16_e32 v60, v61, v0
	v_fma_f16 v63, v102, v0, -v133
	v_fmac_f16_e32 v57, v56, v1
	v_fma_f16 v61, v95, v1, -v134
	v_fmac_f16_e32 v49, v78, v4
	v_fmac_f16_e32 v27, v75, v5
	v_fma_f16 v0, v97, v5, -v138
	v_fmac_f16_e32 v47, v77, v6
	v_fma_f16 v1, v99, v6, -v139
	v_fmac_f16_e32 v52, v89, v8
	v_fmac_f16_e32 v55, v88, v9
	v_fma_f16 v5, v112, v9, -v142
	v_fmac_f16_e32 v58, v86, v10
	v_fmac_f16_e32 v62, v84, v11
	v_fma_f16 v6, v107, v11, -v144
	v_sub_f16_e32 v9, v105, v83
	v_sub_f16_e32 v11, v92, v91
	;; [unrolled: 1-line block ×6, first 2 shown]
	v_add_f16_e32 v89, v66, v103
	v_fmac_f16_e32 v54, v79, v2
	v_fma_f16 v56, v101, v2, -v135
	v_fmac_f16_e32 v51, v53, v3
	v_fma_f16 v53, v96, v3, -v136
	v_fma_f16 v2, v100, v4, -v137
	v_fmac_f16_e32 v50, v74, v7
	v_fma_f16 v3, v98, v7, -v140
	v_fma_f16 v4, v115, v8, -v141
	;; [unrolled: 1-line block ×3, first 2 shown]
	v_add_f16_e32 v8, v103, v104
	v_add_f16_e32 v10, v93, v94
	v_add_f16_e32 v74, v81, v87
	v_add_f16_e32 v77, v72, v76
	v_add_f16_e32 v79, v69, v70
	v_add_f16_e32 v88, v64, v65
	v_mul_f16_e32 v95, 0xb770, v9
	v_mul_f16_e32 v96, 0xba95, v9
	v_mul_f16_e32 v97, 0xbbf1, v9
	v_mul_f16_e32 v98, 0xbb7b, v9
	v_mul_f16_e32 v99, 0xb94e, v9
	v_mul_f16_e32 v9, 0xb3a8, v9
	v_mul_f16_e32 v100, 0xba95, v11
	v_mul_f16_e32 v101, 0xbb7b, v11
	v_mul_f16_e32 v102, 0xb3a8, v11
	v_mul_f16_e32 v106, 0x394e, v11
	v_mul_f16_e32 v107, 0x3bf1, v11
	v_mul_f16_e32 v11, 0x3770, v11
	v_mul_f16_e32 v108, 0xbbf1, v75
	v_mul_f16_e32 v109, 0xb3a8, v75
	v_mul_f16_e32 v110, 0x3b7b, v75
	v_mul_f16_e32 v111, 0x3770, v75
	v_mul_f16_e32 v112, 0xba95, v75
	v_mul_f16_e32 v75, 0xb94e, v75
	v_mul_f16_e32 v113, 0xbb7b, v78
	v_mul_f16_e32 v114, 0x394e, v78
	v_mul_f16_e32 v115, 0x3770, v78
	v_mul_f16_e32 v116, 0xbbf1, v78
	v_mul_f16_e32 v117, 0x33a8, v78
	v_mul_f16_e32 v78, 0x3a95, v78
	v_mul_f16_e32 v118, 0xb94e, v84
	v_mul_f16_e32 v119, 0x3bf1, v84
	v_mul_f16_e32 v120, 0xba95, v84
	v_mul_f16_e32 v121, 0x33a8, v84
	v_mul_f16_e32 v122, 0x3770, v84
	v_mul_f16_e32 v84, 0xbb7b, v84
	v_mul_f16_e32 v123, 0xb3a8, v86
	v_mul_f16_e32 v124, 0x3770, v86
	v_mul_f16_e32 v125, 0xb94e, v86
	v_mul_f16_e32 v126, 0x3a95, v86
	v_mul_f16_e32 v127, 0xbb7b, v86
	v_mul_f16_e32 v86, 0x3bf1, v86
	v_add_f16_e32 v89, v89, v93
	v_fmamk_f16 v128, v8, 0x3b15, v95
	v_fma_f16 v95, v8, 0x3b15, -v95
	v_fmamk_f16 v129, v8, 0x388b, v96
	v_fma_f16 v96, v8, 0x388b, -v96
	;; [unrolled: 2-line block ×36, first 2 shown]
	v_add_f16_e32 v88, v89, v81
	v_add_f16_e32 v89, v66, v128
	;; [unrolled: 1-line block ×71, first 2 shown]
	ds_write_b16 v59, v9 offset:8
	ds_write_b16 v59, v66 offset:16
	;; [unrolled: 1-line block ×3, first 2 shown]
	v_add_f16_e32 v9, v10, v94
	v_add_f16_e32 v11, v118, v11
	;; [unrolled: 1-line block ×9, first 2 shown]
	ds_write_b16 v59, v78 offset:32
	ds_write_b16 v59, v84 offset:40
	;; [unrolled: 1-line block ×4, first 2 shown]
	v_add_f16_e32 v8, v9, v104
	v_add_f16_e32 v11, v123, v11
	ds_write_b16 v59, v88 offset:64
	ds_write_b16 v59, v79 offset:72
	;; [unrolled: 1-line block ×4, first 2 shown]
	ds_write_b16 v59, v8
	ds_write_b16 v59, v11 offset:96
	s_and_saveexec_b32 s1, s0
	s_cbranch_execz .LBB0_33
; %bb.32:
	v_sub_f16_e32 v10, v63, v6
	v_add_f16_e32 v9, v60, v62
	v_sub_f16_e32 v66, v61, v7
	v_add_f16_e32 v11, v57, v58
	v_sub_f16_e32 v75, v56, v5
	v_mul_f16_e32 v89, 0xb3a8, v10
	v_add_f16_e32 v74, v54, v55
	v_mul_f16_e32 v95, 0x3770, v66
	v_sub_f16_e32 v78, v53, v4
	v_mul_f16_e32 v96, 0xb94e, v75
	v_fma_f16 v106, v9, 0xbbc4, -v89
	v_fmac_f16_e32 v89, 0xbbc4, v9
	v_fma_f16 v107, v11, 0x3b15, -v95
	v_mul_f16_e32 v100, 0xb94e, v10
	v_fma_f16 v108, v74, 0xb9fd, -v96
	v_add_f16_e32 v106, v25, v106
	v_fmac_f16_e32 v95, 0x3b15, v11
	v_add_f16_e32 v89, v25, v89
	v_add_f16_e32 v77, v51, v52
	v_sub_f16_e32 v84, v2, v3
	v_add_f16_e32 v106, v107, v106
	v_mul_f16_e32 v97, 0x3a95, v78
	v_mul_f16_e32 v101, 0x3bf1, v66
	v_fmac_f16_e32 v96, 0xb9fd, v74
	v_add_f16_e32 v89, v95, v89
	v_add_f16_e32 v95, v108, v106
	v_fma_f16 v106, v9, 0xb9fd, -v100
	v_add_f16_e32 v79, v49, v50
	v_mul_f16_e32 v98, 0xbb7b, v84
	v_mul_f16_e32 v102, 0xba95, v75
	v_fma_f16 v109, v77, 0x388b, -v97
	v_fmac_f16_e32 v97, 0x388b, v77
	v_fma_f16 v107, v11, 0x2fb7, -v101
	v_add_f16_e32 v89, v96, v89
	v_add_f16_e32 v96, v25, v106
	v_sub_f16_e32 v88, v0, v1
	v_fma_f16 v110, v79, 0xb5ac, -v98
	v_fmac_f16_e32 v98, 0xb5ac, v79
	v_add_f16_e32 v89, v97, v89
	v_add_f16_e32 v96, v107, v96
	v_fma_f16 v97, v74, 0x388b, -v102
	v_mul_f16_e32 v106, 0x33a8, v78
	v_add_f16_e32 v86, v27, v47
	v_mul_f16_e32 v99, 0x3bf1, v88
	v_add_f16_e32 v89, v98, v89
	v_fmac_f16_e32 v100, 0xb9fd, v9
	v_add_f16_e32 v96, v97, v96
	v_fma_f16 v97, v77, 0xbbc4, -v106
	v_mul_f16_e32 v98, 0x3770, v84
	v_fma_f16 v111, v86, 0x2fb7, -v99
	v_fmac_f16_e32 v99, 0x2fb7, v86
	v_add_f16_e32 v100, v25, v100
	v_fmac_f16_e32 v101, 0x2fb7, v11
	v_add_f16_e32 v96, v97, v96
	v_fma_f16 v97, v79, 0x3b15, -v98
	v_mul_f16_e32 v107, 0xbb7b, v10
	v_add_f16_e32 v89, v99, v89
	v_add_f16_e32 v99, v101, v100
	v_fmac_f16_e32 v102, 0x388b, v74
	v_add_f16_e32 v96, v97, v96
	v_fma_f16 v97, v9, 0xb5ac, -v107
	v_mul_f16_e32 v100, 0x394e, v66
	v_fmac_f16_e32 v106, 0xbbc4, v77
	v_add_f16_e32 v99, v102, v99
	v_mul_f16_e32 v108, 0x3770, v75
	v_add_f16_e32 v97, v25, v97
	v_fma_f16 v102, v11, 0xb9fd, -v100
	v_fmac_f16_e32 v107, 0xb5ac, v9
	v_mul_f16_e32 v101, 0xbb7b, v88
	v_add_f16_e32 v99, v106, v99
	v_fmac_f16_e32 v98, 0x3b15, v79
	v_add_f16_e32 v97, v102, v97
	v_fma_f16 v102, v74, 0x3b15, -v108
	v_mul_f16_e32 v106, 0xbbf1, v78
	v_add_f16_e32 v107, v25, v107
	v_fmac_f16_e32 v100, 0xb9fd, v11
	v_add_f16_e32 v95, v109, v95
	v_fma_f16 v109, v86, 0xb5ac, -v101
	v_add_f16_e32 v98, v98, v99
	v_add_f16_e32 v97, v102, v97
	v_fma_f16 v99, v77, 0x2fb7, -v106
	v_mul_f16_e32 v102, 0x33a8, v84
	v_add_f16_e32 v100, v100, v107
	v_fmac_f16_e32 v108, 0x3b15, v74
	v_add_f16_e32 v96, v109, v96
	v_fmac_f16_e32 v101, 0xb5ac, v86
	v_add_f16_e32 v97, v99, v97
	v_fma_f16 v99, v79, 0xbbc4, -v102
	v_mul_f16_e32 v109, 0xbbf1, v10
	v_add_f16_e32 v100, v108, v100
	v_fmac_f16_e32 v106, 0x2fb7, v77
	v_add_f16_e32 v8, v25, v60
	v_add_f16_e32 v95, v110, v95
	;; [unrolled: 1-line block ×4, first 2 shown]
	v_fma_f16 v99, v9, 0x2fb7, -v109
	v_mul_f16_e32 v101, 0xb3a8, v66
	v_mul_f16_e32 v107, 0x3a95, v88
	v_add_f16_e32 v100, v106, v100
	v_fmac_f16_e32 v102, 0xbbc4, v79
	v_add_f16_e32 v8, v8, v57
	v_add_f16_e32 v95, v111, v95
	;; [unrolled: 1-line block ×3, first 2 shown]
	v_fma_f16 v108, v11, 0xbbc4, -v101
	v_mul_f16_e32 v110, 0x3b7b, v75
	v_fma_f16 v111, v86, 0x388b, -v107
	v_add_f16_e32 v100, v102, v100
	v_fmac_f16_e32 v109, 0x2fb7, v9
	v_fmac_f16_e32 v107, 0x388b, v86
	v_add_f16_e32 v8, v8, v54
	v_add_f16_e32 v99, v108, v99
	v_fma_f16 v106, v74, 0xb5ac, -v110
	v_mul_f16_e32 v108, 0x3770, v78
	v_add_f16_e32 v109, v25, v109
	v_fmac_f16_e32 v101, 0xbbc4, v11
	v_add_f16_e32 v100, v107, v100
	v_mul_f16_e32 v107, 0xba95, v10
	v_add_f16_e32 v8, v8, v51
	v_add_f16_e32 v97, v111, v97
	;; [unrolled: 1-line block ×3, first 2 shown]
	v_fma_f16 v102, v77, 0x3b15, -v108
	v_mul_f16_e32 v106, 0xba95, v84
	v_add_f16_e32 v101, v101, v109
	v_fmac_f16_e32 v110, 0xb5ac, v74
	v_fma_f16 v109, v9, 0x388b, -v107
	v_mul_f16_e32 v111, 0xbb7b, v66
	v_fmac_f16_e32 v107, 0x388b, v9
	v_add_f16_e32 v8, v8, v49
	v_add_f16_e32 v99, v102, v99
	v_fma_f16 v102, v79, 0x388b, -v106
	v_add_f16_e32 v101, v110, v101
	v_fmac_f16_e32 v108, 0x3b15, v77
	v_add_f16_e32 v109, v25, v109
	v_fma_f16 v112, v11, 0xb5ac, -v111
	v_mul_f16_e32 v113, 0xb3a8, v75
	v_add_f16_e32 v107, v25, v107
	v_fmac_f16_e32 v111, 0xb5ac, v11
	v_mul_f16_e32 v10, 0xb770, v10
	v_add_f16_e32 v8, v8, v27
	v_add_f16_e32 v99, v102, v99
	v_mul_f16_e32 v102, 0xb94e, v88
	v_add_f16_e32 v101, v108, v101
	v_add_f16_e32 v108, v112, v109
	v_fma_f16 v109, v74, 0xbbc4, -v113
	v_add_f16_e32 v107, v111, v107
	v_fmac_f16_e32 v113, 0xbbc4, v74
	v_mul_f16_e32 v66, 0xba95, v66
	v_fma_f16 v111, v9, 0x3b15, -v10
	v_fmac_f16_e32 v10, 0x3b15, v9
	v_add_f16_e32 v8, v8, v47
	v_fma_f16 v110, v86, 0xb9fd, -v102
	v_add_f16_e32 v9, v113, v107
	v_fma_f16 v107, v11, 0x388b, -v66
	v_mul_f16_e32 v75, 0xbbf1, v75
	v_add_f16_e32 v10, v25, v10
	v_fmac_f16_e32 v66, 0x388b, v11
	v_add_f16_e32 v8, v8, v50
	v_add_f16_e32 v99, v110, v99
	v_mul_f16_e32 v110, 0x394e, v78
	v_add_f16_e32 v11, v25, v111
	v_fma_f16 v25, v74, 0x2fb7, -v75
	v_mul_f16_e32 v78, 0xbb7b, v78
	v_add_f16_e32 v10, v66, v10
	v_fmac_f16_e32 v75, 0x2fb7, v74
	v_fmac_f16_e32 v106, 0x388b, v79
	v_add_f16_e32 v8, v8, v52
	v_add_f16_e32 v11, v107, v11
	v_mul_f16_e32 v66, 0xb94e, v84
	v_fma_f16 v74, v77, 0xb5ac, -v78
	v_add_f16_e32 v10, v75, v10
	v_fmac_f16_e32 v78, 0xb5ac, v77
	v_add_f16_e32 v101, v106, v101
	v_fmac_f16_e32 v102, 0xb9fd, v86
	v_add_f16_e32 v106, v109, v108
	v_fma_f16 v108, v77, 0xb9fd, -v110
	v_mul_f16_e32 v109, 0x3bf1, v84
	v_fmac_f16_e32 v110, 0xb9fd, v77
	v_mul_lo_u32 v77, v23, 52
	v_add_f16_e32 v8, v8, v55
	v_add_f16_e32 v11, v25, v11
	v_fma_f16 v25, v79, 0xb9fd, -v66
	v_add_f16_e32 v10, v78, v10
	v_fmac_f16_e32 v66, 0xb9fd, v79
	v_mul_f16_e32 v75, 0xb3a8, v88
	v_add_f16_e32 v101, v102, v101
	v_add_f16_e32 v102, v108, v106
	v_fma_f16 v106, v79, 0x2fb7, -v109
	v_mul_f16_e32 v108, 0x3770, v88
	v_add_f16_e32 v9, v110, v9
	v_fmac_f16_e32 v109, 0x2fb7, v79
	v_add_f16_e32 v8, v8, v58
	v_add_f16_e32 v11, v74, v11
	;; [unrolled: 1-line block ×3, first 2 shown]
	v_or_b32_e32 v66, v77, v19
	v_fma_f16 v74, v86, 0xbbc4, -v75
	v_fmac_f16_e32 v75, 0xbbc4, v86
	v_fma_f16 v78, v86, 0x3b15, -v108
	v_add_f16_e32 v9, v109, v9
	v_fmac_f16_e32 v108, 0x3b15, v86
	v_add_f16_e32 v8, v8, v62
	v_add_f16_e32 v77, v106, v102
	;; [unrolled: 1-line block ×3, first 2 shown]
	v_lshl_add_u32 v25, v66, 1, 0
	v_add_f16_e32 v10, v75, v10
	v_add_f16_e32 v9, v108, v9
	;; [unrolled: 1-line block ×4, first 2 shown]
	ds_write_b16 v25, v8
	ds_write_b16 v25, v10 offset:8
	ds_write_b16 v25, v9 offset:16
	;; [unrolled: 1-line block ×12, first 2 shown]
.LBB0_33:
	s_or_b32 exec_lo, exec_lo, s1
	v_add_f16_e32 v8, v48, v105
	v_add_f16_e32 v9, v105, v83
	v_sub_f16_e32 v10, v103, v104
	v_add_f16_e32 v11, v92, v91
	v_sub_f16_e32 v25, v93, v94
	v_add_f16_e32 v8, v8, v92
	v_mul_f16_e32 v66, 0x3b15, v9
	v_mul_f16_e32 v74, 0x388b, v9
	;; [unrolled: 1-line block ×4, first 2 shown]
	v_add_f16_e32 v8, v8, v90
	v_mul_f16_e32 v78, 0xb9fd, v9
	v_mul_f16_e32 v9, 0xbbc4, v9
	;; [unrolled: 1-line block ×3, first 2 shown]
	v_fmamk_f16 v88, v10, 0x3770, v66
	v_add_f16_e32 v8, v8, v80
	v_fmac_f16_e32 v66, 0xb770, v10
	v_mul_f16_e32 v84, 0xb5ac, v11
	v_fmamk_f16 v89, v10, 0x3a95, v74
	v_fmac_f16_e32 v74, 0xba95, v10
	v_add_f16_e32 v8, v8, v71
	v_fmamk_f16 v92, v10, 0x3bf1, v75
	v_fmac_f16_e32 v75, 0xbbf1, v10
	v_fmamk_f16 v93, v10, 0x3b7b, v77
	v_fmac_f16_e32 v77, 0xbb7b, v10
	v_add_f16_e32 v8, v8, v67
	v_fmamk_f16 v94, v10, 0x394e, v78
	v_fmac_f16_e32 v78, 0xb94e, v10
	v_fmamk_f16 v95, v10, 0x33a8, v9
	v_fmac_f16_e32 v9, 0xb3a8, v10
	v_add_f16_e32 v8, v8, v68
	v_fmamk_f16 v10, v25, 0x3a95, v79
	v_fmac_f16_e32 v79, 0xba95, v25
	v_add_f16_e32 v66, v48, v66
	v_mul_f16_e32 v86, 0xbbc4, v11
	v_add_f16_e32 v8, v8, v73
	v_fmamk_f16 v96, v25, 0x3b7b, v84
	v_fmac_f16_e32 v84, 0xbb7b, v25
	v_add_f16_e32 v88, v48, v88
	v_add_f16_e32 v89, v48, v89
	;; [unrolled: 1-line block ×18, first 2 shown]
	v_mul_f16_e32 v8, 0xb9fd, v11
	v_fmamk_f16 v83, v25, 0x33a8, v86
	v_fmac_f16_e32 v86, 0xb3a8, v25
	v_mul_f16_e32 v84, 0x2fb7, v11
	v_mul_f16_e32 v11, 0x3b15, v11
	v_fmamk_f16 v88, v25, 0xb94e, v8
	v_fmac_f16_e32 v8, 0x394e, v25
	v_add_f16_e32 v75, v86, v75
	v_fmamk_f16 v86, v25, 0xbbf1, v84
	v_fmac_f16_e32 v84, 0x3bf1, v25
	v_sub_f16_e32 v81, v81, v87
	v_add_f16_e32 v8, v8, v77
	v_add_f16_e32 v77, v90, v85
	v_fmamk_f16 v87, v25, 0xb770, v11
	v_fmac_f16_e32 v11, 0x3770, v25
	v_add_f16_e32 v25, v84, v78
	v_add_f16_e32 v66, v96, v89
	v_mul_f16_e32 v78, 0xbbc4, v77
	v_add_f16_e32 v85, v86, v94
	v_mul_f16_e32 v86, 0x2fb7, v77
	v_add_f16_e32 v9, v11, v9
	v_add_f16_e32 v83, v83, v92
	v_fmamk_f16 v11, v81, 0x33a8, v78
	v_fmac_f16_e32 v78, 0xb3a8, v81
	v_fmamk_f16 v84, v81, 0x3bf1, v86
	v_fmac_f16_e32 v86, 0xbbf1, v81
	v_sub_f16_e32 v72, v72, v76
	v_add_f16_e32 v11, v11, v66
	v_mul_f16_e32 v66, 0x3b15, v77
	v_add_f16_e32 v10, v84, v10
	v_mul_f16_e32 v84, 0xb5ac, v77
	v_add_f16_e32 v48, v86, v48
	v_add_f16_e32 v74, v78, v74
	v_fmamk_f16 v89, v81, 0xb770, v66
	v_fmac_f16_e32 v66, 0x3770, v81
	v_fmamk_f16 v78, v81, 0xbb7b, v84
	v_mul_f16_e32 v86, 0x388b, v77
	v_mul_f16_e32 v77, 0xb9fd, v77
	v_fmac_f16_e32 v84, 0x3b7b, v81
	v_add_f16_e32 v8, v66, v8
	v_add_f16_e32 v66, v80, v82
	;; [unrolled: 1-line block ×3, first 2 shown]
	v_fmamk_f16 v83, v81, 0x3a95, v86
	v_fmac_f16_e32 v86, 0xba95, v81
	v_fmamk_f16 v82, v81, 0x394e, v77
	v_mul_f16_e32 v76, 0xb5ac, v66
	v_fmac_f16_e32 v77, 0xb94e, v81
	v_add_f16_e32 v80, v83, v85
	v_mul_f16_e32 v81, 0xb9fd, v66
	v_add_f16_e32 v71, v71, v73
	v_fmamk_f16 v83, v72, 0x3b7b, v76
	v_fmac_f16_e32 v76, 0xbb7b, v72
	v_add_f16_e32 v9, v77, v9
	v_fmamk_f16 v77, v72, 0xb94e, v81
	v_fmac_f16_e32 v81, 0x394e, v72
	v_add_f16_e32 v10, v83, v10
	v_mul_f16_e32 v83, 0x3b15, v66
	v_add_f16_e32 v48, v76, v48
	v_mul_f16_e32 v76, 0x2fb7, v66
	v_add_f16_e32 v11, v77, v11
	v_add_f16_e32 v74, v81, v74
	v_fmamk_f16 v77, v72, 0xb770, v83
	v_mul_f16_e32 v81, 0xbbc4, v66
	v_fmamk_f16 v85, v72, 0x3bf1, v76
	v_fmac_f16_e32 v76, 0xbbf1, v72
	v_mul_f16_e32 v66, 0x388b, v66
	v_fmac_f16_e32 v83, 0x3770, v72
	v_add_f16_e32 v77, v77, v78
	v_fmamk_f16 v78, v72, 0xb3a8, v81
	v_add_f16_e32 v8, v76, v8
	v_fmac_f16_e32 v81, 0x33a8, v72
	v_sub_f16_e32 v69, v69, v70
	v_mul_f16_e32 v70, 0xb9fd, v71
	v_fmamk_f16 v76, v72, 0xba95, v66
	v_fmac_f16_e32 v66, 0x3a95, v72
	v_mul_f16_e32 v72, 0x2fb7, v71
	v_add_f16_e32 v73, v78, v80
	v_fmamk_f16 v78, v69, 0x394e, v70
	v_add_f16_e32 v88, v88, v93
	v_add_f16_e32 v9, v66, v9
	v_fmamk_f16 v66, v69, 0xbbf1, v72
	v_fmac_f16_e32 v70, 0xb94e, v69
	v_add_f16_e32 v10, v78, v10
	v_mul_f16_e32 v78, 0x388b, v71
	v_fmac_f16_e32 v72, 0x3bf1, v69
	v_add_f16_e32 v11, v66, v11
	v_mul_f16_e32 v66, 0xbbc4, v71
	v_add_f16_e32 v87, v87, v95
	v_add_f16_e32 v75, v84, v75
	;; [unrolled: 1-line block ×5, first 2 shown]
	v_fmamk_f16 v70, v69, 0x3a95, v78
	v_add_f16_e32 v72, v72, v74
	v_mul_f16_e32 v74, 0x3b15, v71
	v_fmamk_f16 v80, v69, 0xb3a8, v66
	v_fmac_f16_e32 v66, 0x33a8, v69
	v_add_f16_e32 v82, v82, v87
	v_add_f16_e32 v75, v83, v75
	;; [unrolled: 1-line block ×4, first 2 shown]
	v_fmac_f16_e32 v78, 0xba95, v69
	v_add_f16_e32 v70, v70, v77
	v_fmamk_f16 v77, v69, 0xb770, v74
	v_mul_f16_e32 v71, 0xb5ac, v71
	v_add_f16_e32 v8, v66, v8
	v_add_f16_e32 v66, v67, v68
	v_fmac_f16_e32 v74, 0x3770, v69
	v_add_f16_e32 v76, v76, v82
	v_add_f16_e32 v75, v78, v75
	;; [unrolled: 1-line block ×3, first 2 shown]
	v_fmamk_f16 v68, v69, 0x3b7b, v71
	v_sub_f16_e32 v64, v64, v65
	v_mul_f16_e32 v65, 0xbbc4, v66
	v_fmac_f16_e32 v71, 0xbb7b, v69
	v_add_f16_e32 v80, v74, v25
	v_mul_f16_e32 v25, 0x3b15, v66
	v_add_f16_e32 v81, v68, v76
	v_fmamk_f16 v68, v64, 0x33a8, v65
	v_add_f16_e32 v82, v71, v9
	v_mul_f16_e32 v69, 0xb9fd, v66
	v_fmamk_f16 v9, v64, 0xb770, v25
	v_mul_f16_e32 v87, 0xb5ac, v66
	v_add_f16_e32 v83, v68, v10
	v_mul_f16_e32 v10, 0x388b, v66
	v_add_f16_e32 v67, v77, v73
	v_add_f16_e32 v85, v9, v11
	v_fmamk_f16 v9, v64, 0x394e, v69
	v_fmac_f16_e32 v65, 0xb3a8, v64
	v_fmac_f16_e32 v25, 0x3770, v64
	;; [unrolled: 1-line block ×3, first 2 shown]
	v_fmamk_f16 v11, v64, 0x3b7b, v87
	v_add_f16_e32 v88, v9, v70
	v_fmamk_f16 v9, v64, 0xba95, v10
	v_fmac_f16_e32 v10, 0x3a95, v64
	v_mul_f16_e32 v90, 0x2fb7, v66
	v_add_f16_e32 v84, v65, v48
	v_add_f16_e32 v86, v25, v72
	;; [unrolled: 1-line block ×6, first 2 shown]
	v_fmac_f16_e32 v87, 0xbb7b, v64
	v_fmamk_f16 v94, v64, 0xbbf1, v90
	v_fmac_f16_e32 v90, 0x3bf1, v64
	s_waitcnt lgkmcnt(0)
	s_barrier
	buffer_gl0_inv
	ds_read_u16 v71, v45
	ds_read_u16 v70, v17
	;; [unrolled: 1-line block ×4, first 2 shown]
	ds_read_u16 v69, v39 offset:416
	ds_read_u16 v68, v39 offset:1352
	;; [unrolled: 1-line block ×3, first 2 shown]
	ds_read_u16 v76, v42
	ds_read_u16 v8, v41
	ds_read_u16 v75, v39 offset:1248
	ds_read_u16 v9, v39 offset:1144
	ds_read_u16 v73, v39 offset:1040
	ds_read_u16 v11, v39 offset:832
	ds_read_u16 v74, v39 offset:728
	ds_read_u16 v48, v39 offset:520
	ds_read_u16 v72, v39 offset:1976
	ds_read_u16 v10, v39 offset:2080
	ds_read_u16 v77, v39 offset:1872
	ds_read_u16 v25, v39 offset:1768
	ds_read_u16 v78, v39 offset:1560
	ds_read_u16 v64, v39 offset:1456
	v_add_f16_e32 v80, v87, v80
	v_add_f16_e32 v81, v94, v81
	;; [unrolled: 1-line block ×3, first 2 shown]
	s_waitcnt lgkmcnt(0)
	s_barrier
	buffer_gl0_inv
	ds_write_b16 v59, v79
	ds_write_b16 v59, v83 offset:8
	ds_write_b16 v59, v85 offset:16
	;; [unrolled: 1-line block ×12, first 2 shown]
	s_and_saveexec_b32 s1, s0
	s_cbranch_execz .LBB0_35
; %bb.34:
	v_add_f16_e32 v59, v21, v63
	v_sub_f16_e32 v57, v57, v58
	v_add_f16_e32 v63, v63, v6
	v_sub_f16_e32 v60, v60, v62
	v_add_f16_e32 v62, v61, v7
	v_add_f16_e32 v58, v59, v61
	v_sub_f16_e32 v54, v54, v55
	v_mul_f16_e32 v61, 0x388b, v63
	v_mul_f16_e32 v59, 0x3b15, v63
	;; [unrolled: 1-line block ×3, first 2 shown]
	v_add_f16_e32 v58, v58, v56
	v_mul_f16_e32 v79, 0x2fb7, v63
	v_fmamk_f16 v87, v60, 0x3a95, v61
	v_fmac_f16_e32 v61, 0xba95, v60
	v_mul_f16_e32 v80, 0xb5ac, v63
	v_add_f16_e32 v58, v58, v53
	v_mul_f16_e32 v81, 0xb9fd, v63
	v_mul_f16_e32 v63, 0xbbc4, v63
	v_fmamk_f16 v92, v57, 0x3b7b, v83
	v_fmac_f16_e32 v83, 0xbb7b, v57
	v_add_f16_e32 v58, v58, v2
	v_add_f16_e32 v61, v21, v61
	v_mul_f16_e32 v82, 0x388b, v62
	v_mul_f16_e32 v84, 0xbbc4, v62
	v_fmamk_f16 v86, v60, 0x3770, v59
	v_add_f16_e32 v58, v58, v0
	v_fmac_f16_e32 v59, 0xb770, v60
	v_fmamk_f16 v88, v60, 0x3bf1, v79
	v_fmac_f16_e32 v79, 0xbbf1, v60
	v_fmamk_f16 v89, v60, 0x3b7b, v80
	v_add_f16_e32 v58, v58, v1
	v_fmac_f16_e32 v80, 0xbb7b, v60
	v_fmamk_f16 v90, v60, 0x394e, v81
	v_fmac_f16_e32 v81, 0xb94e, v60
	v_fmamk_f16 v91, v60, 0x33a8, v63
	v_add_f16_e32 v58, v58, v3
	v_fmac_f16_e32 v63, 0xb3a8, v60
	v_add_f16_e32 v61, v83, v61
	v_mul_f16_e32 v83, 0x2fb7, v62
	v_mul_f16_e32 v85, 0xb9fd, v62
	v_add_f16_e32 v58, v58, v4
	v_fmamk_f16 v60, v57, 0x3a95, v82
	v_fmac_f16_e32 v82, 0xba95, v57
	v_add_f16_e32 v86, v21, v86
	v_add_f16_e32 v59, v21, v59
	;; [unrolled: 1-line block ×14, first 2 shown]
	v_fmamk_f16 v63, v57, 0x33a8, v84
	v_fmac_f16_e32 v84, 0xb3a8, v57
	v_fmamk_f16 v56, v57, 0xbbf1, v83
	v_mul_f16_e32 v62, 0x3b15, v62
	v_fmac_f16_e32 v83, 0x3bf1, v57
	v_mul_f16_e32 v55, 0x2fb7, v5
	v_add_f16_e32 v60, v60, v86
	v_add_f16_e32 v59, v82, v59
	v_fmamk_f16 v82, v57, 0xb94e, v85
	v_fmac_f16_e32 v85, 0x394e, v57
	v_add_f16_e32 v79, v84, v79
	v_fmamk_f16 v84, v57, 0xb770, v62
	v_fmac_f16_e32 v62, 0x3770, v57
	v_add_f16_e32 v57, v83, v81
	v_fmamk_f16 v81, v54, 0x3bf1, v55
	v_mul_f16_e32 v83, 0xbbc4, v5
	v_add_f16_e32 v6, v7, v6
	v_add_f16_e32 v7, v92, v87
	;; [unrolled: 1-line block ×4, first 2 shown]
	v_fmamk_f16 v62, v54, 0x33a8, v83
	v_mul_f16_e32 v81, 0xb5ac, v5
	v_add_f16_e32 v63, v63, v88
	v_fmac_f16_e32 v55, 0xbbf1, v54
	v_add_f16_e32 v4, v53, v4
	v_add_f16_e32 v7, v62, v7
	v_fmamk_f16 v62, v54, 0xbb7b, v81
	v_add_f16_e32 v56, v56, v90
	v_fmac_f16_e32 v83, 0xb3a8, v54
	v_add_f16_e32 v55, v55, v59
	v_mul_f16_e32 v59, 0x3b15, v5
	v_add_f16_e32 v62, v62, v63
	v_mul_f16_e32 v63, 0x388b, v5
	v_mul_f16_e32 v5, 0xb9fd, v5
	v_sub_f16_e32 v51, v51, v52
	v_mul_f16_e32 v52, 0xb5ac, v4
	v_add_f16_e32 v58, v84, v58
	v_fmamk_f16 v53, v54, 0x3a95, v63
	v_fmac_f16_e32 v63, 0xba95, v54
	v_add_f16_e32 v61, v83, v61
	v_fmac_f16_e32 v81, 0x3b7b, v54
	v_fmamk_f16 v83, v54, 0xb770, v59
	v_fmac_f16_e32 v59, 0x3770, v54
	v_add_f16_e32 v53, v53, v56
	v_fmamk_f16 v56, v54, 0x394e, v5
	v_fmac_f16_e32 v5, 0xb94e, v54
	v_add_f16_e32 v54, v63, v57
	v_fmamk_f16 v57, v51, 0x3b7b, v52
	v_mul_f16_e32 v63, 0xb9fd, v4
	v_add_f16_e32 v56, v56, v58
	v_add_f16_e32 v5, v5, v21
	v_mul_f16_e32 v58, 0x3b15, v4
	v_add_f16_e32 v21, v57, v60
	v_fmamk_f16 v57, v51, 0xb94e, v63
	v_fmac_f16_e32 v52, 0xbb7b, v51
	v_add_f16_e32 v80, v85, v80
	v_fmac_f16_e32 v63, 0x394e, v51
	v_add_f16_e32 v2, v2, v3
	v_add_f16_e32 v7, v57, v7
	v_fmamk_f16 v57, v51, 0xb770, v58
	v_add_f16_e32 v52, v52, v55
	v_mul_f16_e32 v55, 0x2fb7, v4
	v_add_f16_e32 v59, v59, v80
	v_add_f16_e32 v60, v63, v61
	;; [unrolled: 1-line block ×3, first 2 shown]
	v_mul_f16_e32 v62, 0xbbc4, v4
	v_fmamk_f16 v61, v51, 0x3bf1, v55
	v_fmac_f16_e32 v55, 0xbbf1, v51
	v_mul_f16_e32 v4, 0x388b, v4
	v_sub_f16_e32 v49, v49, v50
	v_fmamk_f16 v3, v51, 0xb3a8, v62
	v_fmac_f16_e32 v62, 0x33a8, v51
	v_mul_f16_e32 v50, 0xb9fd, v2
	v_fmac_f16_e32 v58, 0x3770, v51
	v_add_f16_e32 v55, v55, v59
	v_add_f16_e32 v3, v3, v53
	v_fmamk_f16 v53, v51, 0xba95, v4
	v_fmac_f16_e32 v4, 0x3a95, v51
	v_add_f16_e32 v51, v62, v54
	v_fmamk_f16 v54, v49, 0x394e, v50
	v_mul_f16_e32 v59, 0x2fb7, v2
	v_fmac_f16_e32 v50, 0xb94e, v49
	v_add_f16_e32 v4, v4, v5
	v_add_f16_e32 v0, v0, v1
	;; [unrolled: 1-line block ×3, first 2 shown]
	v_fmamk_f16 v21, v49, 0xbbf1, v59
	v_mul_f16_e32 v54, 0x388b, v2
	v_fmac_f16_e32 v59, 0x3bf1, v49
	v_add_f16_e32 v50, v50, v52
	v_mul_f16_e32 v52, 0xbbc4, v2
	v_add_f16_e32 v7, v21, v7
	v_fmamk_f16 v21, v49, 0x3a95, v54
	v_add_f16_e32 v53, v53, v56
	v_add_f16_e32 v56, v59, v60
	v_fmamk_f16 v59, v49, 0xb3a8, v52
	v_fmac_f16_e32 v52, 0x33a8, v49
	v_add_f16_e32 v21, v21, v57
	v_mul_f16_e32 v57, 0x3b15, v2
	v_mul_f16_e32 v2, 0xb5ac, v2
	v_sub_f16_e32 v27, v27, v47
	v_mul_f16_e32 v47, 0xbbc4, v0
	v_add_f16_e32 v79, v81, v79
	v_fmamk_f16 v1, v49, 0xb770, v57
	v_fmac_f16_e32 v57, 0x3770, v49
	v_fmac_f16_e32 v54, 0xba95, v49
	v_add_f16_e32 v52, v52, v55
	v_mul_f16_e32 v55, 0x3b15, v0
	v_add_f16_e32 v1, v1, v3
	v_fmamk_f16 v3, v49, 0x3b7b, v2
	v_fmac_f16_e32 v2, 0xbb7b, v49
	v_add_f16_e32 v49, v57, v51
	v_fmamk_f16 v51, v27, 0x33a8, v47
	v_add_f16_e32 v82, v82, v89
	v_add_f16_e32 v58, v58, v79
	;; [unrolled: 1-line block ×3, first 2 shown]
	v_fmac_f16_e32 v47, 0xb3a8, v27
	v_add_f16_e32 v4, v51, v5
	v_fmamk_f16 v5, v27, 0xb770, v55
	v_mul_f16_e32 v51, 0xb9fd, v0
	v_mul_lo_u32 v23, v23, 52
	v_add_f16_e32 v81, v83, v82
	v_add_f16_e32 v54, v54, v58
	v_fmac_f16_e32 v55, 0x3770, v27
	v_add_f16_e32 v47, v47, v50
	v_mul_f16_e32 v50, 0x388b, v0
	v_add_f16_e32 v5, v5, v7
	v_fmamk_f16 v7, v27, 0x394e, v51
	v_fmac_f16_e32 v51, 0xb94e, v27
	v_add_f16_e32 v61, v61, v81
	v_add_f16_e32 v3, v3, v53
	;; [unrolled: 1-line block ×3, first 2 shown]
	v_fmamk_f16 v55, v27, 0xba95, v50
	v_add_f16_e32 v7, v7, v21
	v_fmac_f16_e32 v50, 0x3a95, v27
	v_add_f16_e32 v21, v51, v54
	v_mul_f16_e32 v51, 0xb5ac, v0
	v_mul_f16_e32 v0, 0x2fb7, v0
	v_or_b32_e32 v19, v23, v19
	v_add_f16_e32 v58, v59, v61
	v_add_f16_e32 v50, v50, v52
	v_fmamk_f16 v23, v27, 0x3b7b, v51
	v_fmac_f16_e32 v51, 0xbb7b, v27
	v_fmamk_f16 v52, v27, 0xbbf1, v0
	v_fmac_f16_e32 v0, 0x3bf1, v27
	v_lshl_add_u32 v19, v19, 1, 0
	v_add_f16_e32 v54, v55, v58
	v_add_f16_e32 v1, v23, v1
	;; [unrolled: 1-line block ×5, first 2 shown]
	ds_write_b16 v19, v6
	ds_write_b16 v19, v4 offset:8
	ds_write_b16 v19, v5 offset:16
	;; [unrolled: 1-line block ×12, first 2 shown]
.LBB0_35:
	s_or_b32 exec_lo, exec_lo, s1
	v_mul_u32_u24_e32 v0, 6, v34
	s_waitcnt lgkmcnt(0)
	s_barrier
	buffer_gl0_inv
	v_lshlrev_b32_e32 v0, 2, v0
	s_clause 0x1
	global_load_dwordx4 v[49:52], v0, s[8:9] offset:200
	global_load_dwordx2 v[5:6], v0, s[8:9] offset:216
	v_and_b32_e32 v0, 0xff, v15
	v_mul_lo_u16 v0, 0x4f, v0
	v_lshrrev_b16 v0, 12, v0
	v_mul_lo_u16 v0, v0, 52
	v_sub_nc_u16 v0, v15, v0
	v_and_b32_e32 v7, 0xff, v0
	v_mul_u32_u24_e32 v0, 6, v7
	v_lshl_add_u32 v83, v7, 1, 0
	v_lshlrev_b32_e32 v4, 2, v0
	s_clause 0x1
	global_load_dwordx4 v[0:3], v4, s[8:9] offset:200
	global_load_dwordx2 v[53:54], v4, s[8:9] offset:216
	ds_read_u16 v15, v42
	ds_read_u16 v19, v45
	ds_read_u16 v17, v17
	ds_read_u16 v21, v39 offset:1872
	ds_read_u16 v23, v40
	ds_read_u16 v27, v39
	ds_read_u16 v47, v39 offset:416
	ds_read_u16 v55, v39 offset:1352
	;; [unrolled: 1-line block ×4, first 2 shown]
	ds_read_u16 v4, v41
	ds_read_u16 v58, v39 offset:1248
	ds_read_u16 v59, v39 offset:1144
	;; [unrolled: 1-line block ×10, first 2 shown]
	s_waitcnt vmcnt(0) lgkmcnt(0)
	s_barrier
	buffer_gl0_inv
	v_mul_f16_sdwa v7, v15, v49 dst_sel:DWORD dst_unused:UNUSED_PAD src0_sel:DWORD src1_sel:WORD_1
	v_mul_f16_sdwa v84, v76, v49 dst_sel:DWORD dst_unused:UNUSED_PAD src0_sel:DWORD src1_sel:WORD_1
	;; [unrolled: 1-line block ×24, first 2 shown]
	v_fmac_f16_e32 v7, v76, v49
	v_fma_f16 v15, v15, v49, -v84
	v_fmac_f16_e32 v85, v71, v50
	v_fma_f16 v19, v19, v50, -v86
	;; [unrolled: 2-line block ×12, first 2 shown]
	v_add_f16_e32 v52, v7, v93
	v_add_f16_e32 v55, v15, v21
	v_sub_f16_e32 v7, v7, v93
	v_sub_f16_e32 v15, v15, v21
	v_add_f16_e32 v21, v85, v91
	v_add_f16_e32 v57, v19, v56
	v_sub_f16_e32 v60, v85, v91
	v_sub_f16_e32 v19, v19, v56
	;; [unrolled: 4-line block ×3, first 2 shown]
	v_add_f16_e32 v58, v95, v105
	v_add_f16_e32 v68, v47, v6
	v_sub_f16_e32 v6, v47, v6
	v_add_f16_e32 v47, v97, v103
	v_add_f16_e32 v70, v49, v5
	v_sub_f16_e32 v71, v97, v103
	v_sub_f16_e32 v5, v49, v5
	v_add_f16_e32 v49, v99, v101
	v_add_f16_e32 v72, v50, v51
	v_sub_f16_e32 v73, v101, v99
	;; [unrolled: 4-line block ×3, first 2 shown]
	v_sub_f16_e32 v76, v57, v55
	v_sub_f16_e32 v52, v52, v56
	;; [unrolled: 1-line block ×5, first 2 shown]
	v_add_f16_e32 v77, v67, v60
	v_add_f16_e32 v78, v17, v19
	v_sub_f16_e32 v79, v67, v60
	v_sub_f16_e32 v84, v17, v19
	;; [unrolled: 1-line block ×4, first 2 shown]
	v_add_f16_e32 v85, v47, v58
	v_add_f16_e32 v86, v70, v68
	v_sub_f16_e32 v69, v95, v105
	v_sub_f16_e32 v67, v7, v67
	;; [unrolled: 1-line block ×9, first 2 shown]
	v_add_f16_e32 v89, v73, v71
	v_add_f16_e32 v90, v50, v5
	v_sub_f16_e32 v91, v73, v71
	v_sub_f16_e32 v92, v50, v5
	;; [unrolled: 1-line block ×3, first 2 shown]
	v_add_f16_e32 v51, v56, v51
	v_add_f16_e32 v56, v62, v74
	;; [unrolled: 1-line block ×4, first 2 shown]
	v_mul_f16_e32 v52, 0x3a52, v52
	v_mul_f16_e32 v55, 0x3a52, v55
	;; [unrolled: 1-line block ×8, first 2 shown]
	v_add_f16_e32 v49, v49, v85
	v_add_f16_e32 v72, v72, v86
	v_sub_f16_e32 v73, v69, v73
	v_sub_f16_e32 v50, v6, v50
	;; [unrolled: 1-line block ×3, first 2 shown]
	v_add_f16_e32 v69, v89, v69
	v_add_f16_e32 v6, v90, v6
	v_mul_f16_e32 v58, 0x3a52, v58
	v_mul_f16_e32 v68, 0x3a52, v68
	;; [unrolled: 1-line block ×7, first 2 shown]
	v_add_f16_e32 v66, v66, v51
	v_fmamk_f16 v21, v21, 0x2b26, v52
	v_fmamk_f16 v57, v57, 0x2b26, v55
	v_fma_f16 v62, v75, 0x39e0, -v62
	v_fma_f16 v74, v76, 0x39e0, -v74
	;; [unrolled: 1-line block ×4, first 2 shown]
	v_fmamk_f16 v75, v67, 0xb574, v77
	v_fmamk_f16 v76, v17, 0xb574, v78
	v_fma_f16 v60, v60, 0xbb00, -v77
	v_fma_f16 v19, v19, 0xbb00, -v78
	;; [unrolled: 1-line block ×4, first 2 shown]
	v_add_f16_e32 v65, v65, v49
	v_add_f16_e32 v23, v23, v72
	v_mul_f16_e32 v91, 0xbb00, v71
	v_add_f16_e32 v27, v27, v56
	v_fmamk_f16 v47, v47, 0x2b26, v58
	v_fmamk_f16 v70, v70, 0x2b26, v68
	v_fma_f16 v77, v87, 0x39e0, -v85
	v_fma_f16 v78, v88, 0x39e0, -v86
	;; [unrolled: 1-line block ×3, first 2 shown]
	v_fmamk_f16 v79, v73, 0xb574, v89
	v_fmamk_f16 v84, v50, 0xb574, v90
	v_fma_f16 v71, v71, 0xbb00, -v89
	v_fma_f16 v50, v50, 0x3574, -v92
	v_mul_f16_sdwa v85, v63, v0 dst_sel:DWORD dst_unused:UNUSED_PAD src0_sel:DWORD src1_sel:WORD_1
	v_mul_f16_sdwa v86, v48, v0 dst_sel:DWORD dst_unused:UNUSED_PAD src0_sel:DWORD src1_sel:WORD_1
	;; [unrolled: 1-line block ×7, first 2 shown]
	v_fmamk_f16 v51, v51, 0xbcab, v66
	v_fmac_f16_e32 v75, 0xb70e, v7
	v_fmac_f16_e32 v76, 0xb70e, v15
	;; [unrolled: 1-line block ×6, first 2 shown]
	v_fmamk_f16 v7, v49, 0xbcab, v65
	v_fmamk_f16 v15, v72, 0xbcab, v23
	v_fma_f16 v68, v88, 0xb9e0, -v68
	v_fma_f16 v5, v5, 0xbb00, -v90
	;; [unrolled: 1-line block ×3, first 2 shown]
	v_mul_f16_sdwa v88, v11, v1 dst_sel:DWORD dst_unused:UNUSED_PAD src0_sel:DWORD src1_sel:WORD_1
	v_mul_f16_sdwa v90, v9, v2 dst_sel:DWORD dst_unused:UNUSED_PAD src0_sel:DWORD src1_sel:WORD_1
	;; [unrolled: 1-line block ×5, first 2 shown]
	v_fmamk_f16 v56, v56, 0xbcab, v27
	v_fmac_f16_e32 v79, 0xb70e, v69
	v_fmac_f16_e32 v50, 0xb70e, v6
	;; [unrolled: 1-line block ×3, first 2 shown]
	v_fma_f16 v0, v63, v0, -v86
	v_fmac_f16_e32 v87, v11, v1
	v_fmac_f16_e32 v89, v9, v2
	;; [unrolled: 1-line block ×4, first 2 shown]
	v_fma_f16 v9, v80, v54, -v96
	v_add_f16_e32 v10, v21, v51
	v_add_f16_e32 v21, v62, v51
	;; [unrolled: 1-line block ×7, first 2 shown]
	v_fmac_f16_e32 v84, 0xb70e, v6
	v_fmac_f16_e32 v71, 0xb70e, v69
	v_fmac_f16_e32 v5, 0xb70e, v6
	ds_write_b16 v39, v66
	ds_write_b16 v39, v65 offset:728
	v_fma_f16 v1, v61, v1, -v88
	v_fma_f16 v2, v59, v2, -v90
	v_fmac_f16_e32 v91, v64, v3
	v_fma_f16 v3, v82, v3, -v92
	v_fma_f16 v6, v81, v53, -v94
	v_add_f16_e32 v25, v74, v56
	v_add_f16_e32 v49, v55, v56
	v_add_f16_e32 v53, v78, v15
	v_add_f16_e32 v55, v17, v48
	v_sub_f16_e32 v17, v48, v17
	v_sub_f16_e32 v61, v51, v79
	v_add_f16_e32 v48, v50, v7
	v_sub_f16_e32 v7, v7, v50
	v_add_f16_e32 v65, v79, v51
	v_add_f16_e32 v50, v85, v95
	;; [unrolled: 1-line block ×3, first 2 shown]
	v_sub_f16_e32 v0, v0, v9
	v_add_f16_e32 v9, v87, v93
	v_fmac_f16_e32 v73, 0xb70e, v69
	v_add_f16_e32 v11, v57, v56
	v_add_f16_e32 v15, v68, v15
	v_sub_f16_e32 v57, v49, v67
	v_sub_f16_e32 v58, v21, v19
	v_add_f16_e32 v59, v60, v25
	v_add_f16_e32 v19, v19, v21
	v_sub_f16_e32 v21, v25, v60
	v_add_f16_e32 v25, v67, v49
	v_add_f16_e32 v63, v71, v53
	v_sub_f16_e32 v64, v53, v71
	v_add_f16_e32 v53, v1, v6
	v_sub_f16_e32 v1, v1, v6
	v_add_f16_e32 v6, v89, v91
	v_add_f16_e32 v67, v2, v3
	v_sub_f16_e32 v2, v3, v2
	v_add_f16_e32 v3, v9, v50
	v_sub_f16_e32 v49, v52, v5
	;; [unrolled: 2-line block ×3, first 2 shown]
	v_sub_f16_e32 v66, v87, v93
	v_sub_f16_e32 v68, v91, v89
	v_add_f16_e32 v54, v76, v10
	v_sub_f16_e32 v56, v11, v75
	v_add_f16_e32 v60, v75, v11
	;; [unrolled: 2-line block ×3, first 2 shown]
	v_add_f16_e32 v69, v53, v51
	v_sub_f16_e32 v70, v9, v50
	v_sub_f16_e32 v50, v50, v6
	v_add_f16_e32 v73, v2, v1
	v_sub_f16_e32 v75, v2, v1
	v_sub_f16_e32 v1, v1, v0
	v_add_f16_e32 v3, v6, v3
	v_sub_f16_e32 v9, v6, v9
	v_add_f16_e32 v72, v68, v66
	v_sub_f16_e32 v74, v68, v66
	v_sub_f16_e32 v66, v66, v52
	v_add_f16_e32 v11, v84, v47
	v_sub_f16_e32 v47, v47, v84
	v_sub_f16_e32 v10, v10, v76
	v_sub_f16_e32 v71, v53, v51
	v_sub_f16_e32 v51, v51, v67
	v_sub_f16_e32 v53, v67, v53
	v_sub_f16_e32 v2, v0, v2
	ds_write_b16 v39, v54 offset:104
	ds_write_b16 v39, v55 offset:208
	ds_write_b16 v39, v58 offset:312
	ds_write_b16 v39, v19 offset:416
	ds_write_b16 v39, v17 offset:520
	ds_write_b16 v39, v10 offset:624
	ds_write_b16 v39, v11 offset:832
	ds_write_b16 v39, v48 offset:936
	ds_write_b16 v39, v49 offset:1040
	ds_write_b16 v39, v5 offset:1144
	ds_write_b16 v39, v7 offset:1248
	ds_write_b16 v39, v47 offset:1352
	v_add_f16_e32 v5, v67, v69
	v_mul_f16_e32 v7, 0x3a52, v50
	v_mul_f16_e32 v47, 0x3846, v75
	;; [unrolled: 1-line block ×3, first 2 shown]
	v_add_f16_e32 v8, v8, v3
	v_sub_f16_e32 v68, v52, v68
	v_mul_f16_e32 v11, 0x2b26, v9
	v_mul_f16_e32 v19, 0x3846, v74
	;; [unrolled: 1-line block ×3, first 2 shown]
	v_add_f16_e32 v0, v73, v0
	v_mul_f16_e32 v10, 0x3a52, v51
	v_mul_f16_e32 v17, 0x2b26, v53
	v_add_f16_e32 v58, v4, v5
	v_fmamk_f16 v4, v9, 0x2b26, v7
	v_fmamk_f16 v51, v2, 0xb574, v47
	v_fma_f16 v1, v1, 0xbb00, -v47
	v_fma_f16 v2, v2, 0x3574, -v49
	v_fmamk_f16 v3, v3, 0xbcab, v8
	v_add_f16_e32 v6, v72, v52
	v_fma_f16 v11, v70, 0x39e0, -v11
	v_fma_f16 v7, v70, 0xb9e0, -v7
	v_fmamk_f16 v50, v68, 0xb574, v19
	v_fma_f16 v19, v66, 0xbb00, -v19
	v_fma_f16 v47, v68, 0x3574, -v48
	v_fmamk_f16 v9, v53, 0x2b26, v10
	;; [unrolled: 3-line block ×3, first 2 shown]
	v_fmac_f16_e32 v51, 0xb70e, v0
	v_fmac_f16_e32 v1, 0xb70e, v0
	v_fmac_f16_e32 v2, 0xb70e, v0
	v_add_f16_e32 v0, v4, v3
	v_fmac_f16_e32 v50, 0xb70e, v6
	v_fmac_f16_e32 v19, 0xb70e, v6
	;; [unrolled: 1-line block ×3, first 2 shown]
	v_add_f16_e32 v6, v11, v3
	v_add_f16_e32 v3, v7, v3
	ds_write_b16 v83, v8 offset:1456
	v_add_f16_e32 v4, v9, v5
	v_add_f16_e32 v7, v10, v5
	;; [unrolled: 1-line block ×5, first 2 shown]
	v_sub_f16_e32 v10, v6, v1
	v_add_f16_e32 v1, v1, v6
	v_sub_f16_e32 v2, v3, v2
	v_sub_f16_e32 v0, v0, v51
	;; [unrolled: 1-line block ×4, first 2 shown]
	v_add_f16_e32 v67, v19, v5
	v_sub_f16_e32 v19, v5, v19
	v_add_f16_e32 v68, v47, v7
	v_add_f16_e32 v69, v50, v4
	ds_write_b16 v83, v8 offset:1560
	ds_write_b16 v83, v9 offset:1664
	;; [unrolled: 1-line block ×6, first 2 shown]
	s_waitcnt lgkmcnt(0)
	s_barrier
	buffer_gl0_inv
	ds_read_u16 v0, v41
	ds_read_u16 v2, v42
	;; [unrolled: 1-line block ×5, first 2 shown]
	ds_read_u16 v6, v39 offset:832
	ds_read_u16 v9, v39 offset:936
	;; [unrolled: 1-line block ×10, first 2 shown]
	ds_read_u16 v10, v46
	ds_read_u16 v8, v45
	ds_read_u16 v11, v39 offset:1456
	ds_read_u16 v54, v39 offset:1352
	ds_read_u16 v4, v40
	ds_read_u16 v55, v39 offset:2080
	s_waitcnt lgkmcnt(0)
	s_barrier
	buffer_gl0_inv
	ds_write_b16 v39, v27
	ds_write_b16 v39, v56 offset:104
	ds_write_b16 v39, v57 offset:208
	;; [unrolled: 1-line block ×20, first 2 shown]
	s_waitcnt lgkmcnt(0)
	s_barrier
	buffer_gl0_inv
	s_and_saveexec_b32 s0, vcc_lo
	s_cbranch_execz .LBB0_37
; %bb.36:
	v_mov_b32_e32 v15, 0
	v_add_nc_u32_e32 v77, 0x2d8, v34
	v_add_nc_u32_e32 v78, 0x30c, v34
	v_mad_u64_u32 v[58:59], null, s2, v36, 0
	v_mov_b32_e32 v23, v15
	v_lshlrev_b64 v[56:57], 2, v[14:15]
	v_mov_b32_e32 v21, v15
	v_mov_b32_e32 v19, v15
	;; [unrolled: 1-line block ×3, first 2 shown]
	v_lshlrev_b64 v[22:23], 2, v[22:23]
	v_mov_b32_e32 v27, v15
	v_add_co_u32 v56, vcc_lo, s8, v56
	v_lshlrev_b64 v[20:21], 2, v[20:21]
	v_add_co_ci_u32_e32 v57, vcc_lo, s9, v57, vcc_lo
	v_add_co_u32 v22, vcc_lo, s8, v22
	v_lshlrev_b64 v[18:19], 2, v[18:19]
	v_add_co_ci_u32_e32 v23, vcc_lo, s9, v23, vcc_lo
	v_add_co_u32 v20, vcc_lo, s8, v20
	v_lshlrev_b64 v[16:17], 2, v[16:17]
	v_mov_b32_e32 v25, v15
	v_add_co_ci_u32_e32 v21, vcc_lo, s9, v21, vcc_lo
	v_add_co_u32 v18, vcc_lo, s8, v18
	v_lshlrev_b64 v[14:15], 2, v[26:27]
	v_add_co_ci_u32_e32 v19, vcc_lo, s9, v19, vcc_lo
	v_add_co_u32 v16, vcc_lo, s8, v16
	v_lshlrev_b64 v[24:25], 2, v[24:25]
	v_add_co_ci_u32_e32 v17, vcc_lo, s9, v17, vcc_lo
	v_add_co_u32 v14, vcc_lo, s8, v14
	v_add_co_ci_u32_e32 v15, vcc_lo, s9, v15, vcc_lo
	v_add_co_u32 v24, vcc_lo, s8, v24
	s_clause 0x1
	global_load_dwordx2 v[56:57], v[56:57], off offset:1448
	global_load_dwordx2 v[22:23], v[22:23], off offset:1448
	v_add_co_ci_u32_e32 v25, vcc_lo, s9, v25, vcc_lo
	s_clause 0x4
	global_load_dwordx2 v[20:21], v[20:21], off offset:1448
	global_load_dwordx2 v[18:19], v[18:19], off offset:1448
	;; [unrolled: 1-line block ×5, first 2 shown]
	v_mad_u64_u32 v[26:27], null, s2, v34, 0
	ds_read_u16 v80, v46
	ds_read_u16 v81, v45
	;; [unrolled: 1-line block ×7, first 2 shown]
	ds_read_u16 v87, v39 offset:2080
	ds_read_u16 v88, v39 offset:1976
	;; [unrolled: 1-line block ×13, first 2 shown]
	ds_read_u16 v100, v39
	v_mad_u64_u32 v[39:40], null, s2, v37, 0
	v_mad_u64_u32 v[41:42], null, s2, v33, 0
	;; [unrolled: 1-line block ×5, first 2 shown]
	v_lshrrev_b32_e32 v72, 2, v30
	v_mad_u64_u32 v[64:65], null, s2, v77, 0
	v_or_b32_e32 v79, 0x340, v34
	v_mad_u64_u32 v[66:67], null, s2, v78, 0
	v_mad_u64_u32 v[62:63], null, s2, v38, 0
	v_mul_hi_u32 v102, 0x5a05a05b, v72
	v_mad_u64_u32 v[72:73], null, s3, v34, v[27:28]
	v_mad_u64_u32 v[68:69], null, s2, v79, 0
	;; [unrolled: 1-line block ×4, first 2 shown]
	v_add_nc_u32_e32 v101, 0x374, v34
	v_mad_u64_u32 v[33:34], null, s3, v33, v[42:43]
	v_mov_b32_e32 v27, v65
	v_mad_u64_u32 v[34:35], null, s3, v35, v[44:45]
	v_mov_b32_e32 v35, v67
	v_mad_u64_u32 v[74:75], null, s3, v32, v[46:47]
	v_mad_u64_u32 v[75:76], null, s3, v31, v[61:62]
	;; [unrolled: 1-line block ×4, first 2 shown]
	v_mov_b32_e32 v32, v69
	v_mad_u64_u32 v[77:78], null, s3, v78, v[35:36]
	v_mad_u64_u32 v[37:38], null, s3, v38, v[63:64]
	;; [unrolled: 1-line block ×3, first 2 shown]
	v_mov_b32_e32 v27, v72
	v_mov_b32_e32 v31, v71
	;; [unrolled: 1-line block ×9, first 2 shown]
	v_lshlrev_b64 v[26:27], 2, v[26:27]
	v_add_co_u32 v12, vcc_lo, s12, v12
	v_mad_u64_u32 v[31:32], null, s3, v101, v[31:32]
	v_mov_b32_e32 v61, v75
	v_mov_b32_e32 v63, v37
	v_lshlrev_b64 v[32:33], 2, v[39:40]
	v_lshlrev_b64 v[34:35], 2, v[41:42]
	;; [unrolled: 1-line block ×4, first 2 shown]
	v_mov_b32_e32 v69, v78
	v_lshlrev_b64 v[40:41], 2, v[58:59]
	v_lshlrev_b64 v[44:45], 2, v[64:65]
	;; [unrolled: 1-line block ×3, first 2 shown]
	v_add_co_ci_u32_e32 v13, vcc_lo, s13, v13, vcc_lo
	v_add_co_u32 v26, vcc_lo, v12, v26
	v_lshrrev_b32_e32 v71, 5, v102
	v_lshlrev_b64 v[42:43], 2, v[60:61]
	v_lshlrev_b64 v[60:61], 2, v[68:69]
	v_add_co_ci_u32_e32 v27, vcc_lo, v13, v27, vcc_lo
	v_add_co_u32 v32, vcc_lo, v12, v32
	v_add_co_ci_u32_e32 v33, vcc_lo, v13, v33, vcc_lo
	v_add_co_u32 v34, vcc_lo, v12, v34
	;; [unrolled: 2-line block ×9, first 2 shown]
	v_add_co_ci_u32_e32 v61, vcc_lo, v13, v61, vcc_lo
	s_waitcnt vmcnt(6)
	v_mul_f16_sdwa v46, v54, v56 dst_sel:DWORD dst_unused:UNUSED_PAD src0_sel:DWORD src1_sel:WORD_1
	v_mul_f16_sdwa v64, v55, v57 dst_sel:DWORD dst_unused:UNUSED_PAD src0_sel:DWORD src1_sel:WORD_1
	s_waitcnt lgkmcnt(6)
	v_mul_f16_sdwa v65, v94, v56 dst_sel:DWORD dst_unused:UNUSED_PAD src0_sel:DWORD src1_sel:WORD_1
	v_mul_f16_sdwa v66, v87, v57 dst_sel:DWORD dst_unused:UNUSED_PAD src0_sel:DWORD src1_sel:WORD_1
	s_waitcnt vmcnt(4)
	v_mul_f16_sdwa v67, v50, v20 dst_sel:DWORD dst_unused:UNUSED_PAD src0_sel:DWORD src1_sel:WORD_1
	v_fma_f16 v46, v56, v94, -v46
	v_fma_f16 v64, v57, v87, -v64
	v_fmac_f16_e32 v65, v54, v56
	v_fmac_f16_e32 v66, v55, v57
	v_mul_f16_sdwa v54, v52, v22 dst_sel:DWORD dst_unused:UNUSED_PAD src0_sel:DWORD src1_sel:WORD_1
	v_mul_f16_sdwa v55, v53, v23 dst_sel:DWORD dst_unused:UNUSED_PAD src0_sel:DWORD src1_sel:WORD_1
	s_waitcnt lgkmcnt(5)
	v_mul_f16_sdwa v56, v95, v22 dst_sel:DWORD dst_unused:UNUSED_PAD src0_sel:DWORD src1_sel:WORD_1
	v_mul_f16_sdwa v57, v88, v23 dst_sel:DWORD dst_unused:UNUSED_PAD src0_sel:DWORD src1_sel:WORD_1
	v_mul_f16_sdwa v68, v51, v21 dst_sel:DWORD dst_unused:UNUSED_PAD src0_sel:DWORD src1_sel:WORD_1
	s_waitcnt lgkmcnt(4)
	v_mul_f16_sdwa v69, v96, v20 dst_sel:DWORD dst_unused:UNUSED_PAD src0_sel:DWORD src1_sel:WORD_1
	v_mul_f16_sdwa v72, v89, v21 dst_sel:DWORD dst_unused:UNUSED_PAD src0_sel:DWORD src1_sel:WORD_1
	s_waitcnt vmcnt(3)
	v_mul_f16_sdwa v73, v48, v18 dst_sel:DWORD dst_unused:UNUSED_PAD src0_sel:DWORD src1_sel:WORD_1
	v_mul_f16_sdwa v74, v49, v19 dst_sel:DWORD dst_unused:UNUSED_PAD src0_sel:DWORD src1_sel:WORD_1
	s_waitcnt lgkmcnt(3)
	v_mul_f16_sdwa v75, v97, v18 dst_sel:DWORD dst_unused:UNUSED_PAD src0_sel:DWORD src1_sel:WORD_1
	v_mul_f16_sdwa v76, v90, v19 dst_sel:DWORD dst_unused:UNUSED_PAD src0_sel:DWORD src1_sel:WORD_1
	s_waitcnt vmcnt(1) lgkmcnt(1)
	v_mul_f16_sdwa v102, v99, v14 dst_sel:DWORD dst_unused:UNUSED_PAD src0_sel:DWORD src1_sel:WORD_1
	v_mul_f16_sdwa v103, v92, v15 dst_sel:DWORD dst_unused:UNUSED_PAD src0_sel:DWORD src1_sel:WORD_1
	s_waitcnt vmcnt(0)
	v_mul_f16_sdwa v104, v10, v24 dst_sel:DWORD dst_unused:UNUSED_PAD src0_sel:DWORD src1_sel:WORD_1
	v_mul_f16_sdwa v105, v11, v25 dst_sel:DWORD dst_unused:UNUSED_PAD src0_sel:DWORD src1_sel:WORD_1
	;; [unrolled: 1-line block ×10, first 2 shown]
	v_add_f16_e32 v108, v46, v64
	v_add_f16_e32 v110, v65, v66
	v_sub_f16_e32 v111, v46, v64
	v_add_f16_e32 v46, v81, v46
	v_fma_f16 v54, v22, v95, -v54
	v_fma_f16 v55, v23, v88, -v55
	v_fmac_f16_e32 v56, v52, v22
	v_fmac_f16_e32 v57, v53, v23
	v_fma_f16 v22, v20, v96, -v67
	v_fma_f16 v23, v21, v89, -v68
	v_fmac_f16_e32 v69, v50, v20
	v_fmac_f16_e32 v72, v51, v21
	v_fma_f16 v20, v18, v97, -v73
	v_fma_f16 v21, v19, v90, -v74
	v_fmac_f16_e32 v75, v48, v18
	v_fmac_f16_e32 v76, v49, v19
	v_fmac_f16_e32 v102, v6, v14
	v_fmac_f16_e32 v103, v7, v15
	v_fma_f16 v6, v24, v80, -v104
	v_fma_f16 v7, v25, v93, -v105
	v_fmac_f16_e32 v106, v10, v24
	v_fmac_f16_e32 v107, v11, v25
	v_sub_f16_e32 v109, v65, v66
	v_add_f16_e32 v65, v8, v65
	v_fma_f16 v18, v16, v98, -v77
	v_fma_f16 v19, v17, v91, -v78
	v_fmac_f16_e32 v79, v9, v16
	v_fmac_f16_e32 v87, v47, v17
	v_fma_f16 v9, v14, v99, -v94
	v_fma_f16 v16, v15, v92, -v101
	v_fma_f16 v24, -0.5, v110, v8
	v_add_f16_e32 v25, v46, v64
	v_add_f16_e32 v8, v54, v55
	v_sub_f16_e32 v10, v56, v57
	v_add_f16_e32 v11, v56, v57
	v_add_f16_e32 v47, v5, v56
	;; [unrolled: 1-line block ×5, first 2 shown]
	v_sub_f16_e32 v64, v20, v21
	v_add_f16_e32 v20, v84, v20
	v_add_f16_e32 v80, v6, v7
	;; [unrolled: 1-line block ×3, first 2 shown]
	v_sub_f16_e32 v89, v6, v7
	s_waitcnt lgkmcnt(0)
	v_add_f16_e32 v6, v100, v6
	v_add_f16_e32 v90, v1, v106
	;; [unrolled: 1-line block ×9, first 2 shown]
	v_fma_f16 v17, -0.5, v108, v81
	v_sub_f16_e32 v49, v69, v72
	v_add_f16_e32 v65, v2, v75
	v_sub_f16_e32 v81, v106, v107
	v_fma_f16 v82, -0.5, v8, v82
	v_fma_f16 v48, -0.5, v48, v83
	;; [unrolled: 1-line block ×3, first 2 shown]
	v_add_f16_e32 v2, v20, v21
	v_fma_f16 v21, -0.5, v80, v100
	v_fma_f16 v1, -0.5, v88, v1
	v_add_f16_e32 v6, v6, v7
	v_add_f16_e32 v7, v90, v107
	v_sub_f16_e32 v51, v22, v23
	v_add_f16_e32 v22, v83, v22
	v_add_f16_e32 v52, v3, v69
	v_sub_f16_e32 v67, v79, v87
	v_sub_f16_e32 v69, v18, v19
	v_add_f16_e32 v73, v0, v79
	v_sub_f16_e32 v78, v9, v16
	v_add_f16_e32 v9, v86, v9
	v_add_f16_e32 v79, v4, v102
	v_fma_f16 v93, -0.5, v11, v5
	v_add_f16_e32 v11, v15, v55
	v_fma_f16 v50, -0.5, v50, v3
	v_fma_f16 v15, -0.5, v66, v85
	;; [unrolled: 1-line block ×3, first 2 shown]
	v_sub_f16_e32 v14, v54, v55
	v_sub_f16_e32 v54, v75, v76
	;; [unrolled: 1-line block ×3, first 2 shown]
	v_fma_f16 v5, -0.5, v53, v84
	v_fma_f16 v20, -0.5, v74, v86
	;; [unrolled: 1-line block ×3, first 2 shown]
	v_add_f16_e32 v18, v85, v18
	v_add_f16_e32 v3, v65, v76
	v_fmamk_f16 v55, v49, 0xbaee, v48
	v_fmac_f16_e32 v48, 0x3aee, v49
	v_fmamk_f16 v49, v64, 0x3aee, v8
	v_fmac_f16_e32 v8, 0xbaee, v64
	v_fmamk_f16 v64, v81, 0xbaee, v21
	v_fmamk_f16 v65, v89, 0x3aee, v1
	v_fmac_f16_e32 v21, 0x3aee, v81
	v_fmac_f16_e32 v1, 0xbaee, v89
	v_pack_b32_f16 v6, v7, v6
	v_add_f16_e32 v22, v22, v23
	v_add_f16_e32 v23, v52, v72
	;; [unrolled: 1-line block ×4, first 2 shown]
	v_fmamk_f16 v52, v10, 0xbaee, v82
	v_fmac_f16_e32 v82, 0x3aee, v10
	v_fmamk_f16 v56, v51, 0x3aee, v50
	v_fmac_f16_e32 v50, 0xbaee, v51
	v_fmamk_f16 v10, v67, 0xbaee, v15
	v_fmamk_f16 v51, v69, 0x3aee, v0
	v_fmac_f16_e32 v15, 0x3aee, v67
	v_fmac_f16_e32 v0, 0xbaee, v69
	v_add_f16_e32 v47, v47, v57
	v_fmamk_f16 v53, v14, 0x3aee, v93
	v_fmac_f16_e32 v93, 0xbaee, v14
	v_fmamk_f16 v14, v54, 0xbaee, v5
	v_fmac_f16_e32 v5, 0x3aee, v54
	v_fmamk_f16 v54, v75, 0xbaee, v20
	v_fmamk_f16 v57, v78, 0x3aee, v4
	v_fmac_f16_e32 v20, 0x3aee, v75
	v_fmac_f16_e32 v4, 0xbaee, v78
	v_add_f16_e32 v18, v18, v19
	v_add_f16_e32 v19, v73, v87
	v_pack_b32_f16 v1, v1, v21
	global_store_dword v[26:27], v6, off
	v_pack_b32_f16 v6, v65, v64
	v_pack_b32_f16 v7, v16, v9
	;; [unrolled: 1-line block ×7, first 2 shown]
	global_store_dword v[32:33], v1, off
	global_store_dword v[44:45], v6, off
	global_store_dword v[34:35], v7, off
	global_store_dword v[36:37], v4, off
	global_store_dword v[58:59], v16, off
	global_store_dword v[38:39], v9, off
	v_mad_u32_u24 v9, 0x2d8, v71, v30
	v_mov_b32_e32 v71, v31
	global_store_dword v[40:41], v0, off
	global_store_dword v[60:61], v10, off
	v_lshlrev_b64 v[0:1], 2, v[62:63]
	v_pack_b32_f16 v2, v3, v2
	v_pack_b32_f16 v16, v8, v5
	v_lshlrev_b64 v[4:5], 2, v[70:71]
	v_add_nc_u32_e32 v15, 0x16c, v9
	v_lshrrev_b32_e32 v10, 2, v29
	global_store_dword v[42:43], v2, off
	v_mad_u64_u32 v[2:3], null, s2, v9, 0
	v_add_co_u32 v0, vcc_lo, v12, v0
	v_add_co_ci_u32_e32 v1, vcc_lo, v13, v1, vcc_lo
	v_mad_u64_u32 v[6:7], null, s2, v15, 0
	v_add_co_u32 v4, vcc_lo, v12, v4
	v_add_nc_u32_e32 v18, 0x2d8, v9
	v_mul_hi_u32 v19, 0x5a05a05b, v10
	v_add_co_ci_u32_e32 v5, vcc_lo, v13, v5, vcc_lo
	v_mad_u64_u32 v[8:9], null, s3, v9, v[3:4]
	v_mov_b32_e32 v3, v7
	v_mad_u64_u32 v[9:10], null, s2, v18, 0
	v_pack_b32_f16 v7, v49, v14
	global_store_dword v[0:1], v16, off
	global_store_dword v[4:5], v7, off
	v_mad_u64_u32 v[14:15], null, s3, v15, v[3:4]
	v_mov_b32_e32 v3, v8
	v_lshrrev_b32_e32 v8, 5, v19
	v_mov_b32_e32 v0, v10
	v_pack_b32_f16 v16, v56, v55
	v_fmamk_f16 v91, v109, 0xbaee, v17
	v_lshlrev_b64 v[1:2], 2, v[2:3]
	v_mad_u32_u24 v15, 0x2d8, v8, v29
	v_mov_b32_e32 v7, v14
	v_pack_b32_f16 v14, v23, v22
	v_fmamk_f16 v92, v111, 0x3aee, v24
	v_fmac_f16_e32 v17, 0x3aee, v109
	v_mad_u64_u32 v[3:4], null, s3, v18, v[0:1]
	v_mad_u64_u32 v[4:5], null, s2, v15, 0
	v_add_co_u32 v0, vcc_lo, v12, v1
	v_add_co_ci_u32_e32 v1, vcc_lo, v13, v2, vcc_lo
	v_mov_b32_e32 v10, v3
	v_lshlrev_b64 v[6:7], 2, v[6:7]
	v_mov_b32_e32 v2, v5
	v_fmac_f16_e32 v24, 0xbaee, v111
	v_lshlrev_b64 v[8:9], 2, v[9:10]
	v_pack_b32_f16 v10, v50, v48
	v_mad_u64_u32 v[2:3], null, s3, v15, v[2:3]
	v_lshrrev_b32_e32 v3, 2, v28
	v_add_co_u32 v6, vcc_lo, v12, v6
	v_add_co_ci_u32_e32 v7, vcc_lo, v13, v7, vcc_lo
	v_mul_hi_u32 v3, 0x5a05a05b, v3
	v_add_co_u32 v8, vcc_lo, v12, v8
	v_add_co_ci_u32_e32 v9, vcc_lo, v13, v9, vcc_lo
	global_store_dword v[0:1], v14, off
	global_store_dword v[6:7], v10, off
	;; [unrolled: 1-line block ×3, first 2 shown]
	v_mov_b32_e32 v5, v2
	v_lshrrev_b32_e32 v6, 5, v3
	v_add_nc_u32_e32 v8, 0x16c, v15
	v_add_nc_u32_e32 v10, 0x2d8, v15
	v_pack_b32_f16 v15, v47, v11
	v_lshlrev_b64 v[0:1], 2, v[4:5]
	v_mad_u32_u24 v14, 0x2d8, v6, v28
	v_mad_u64_u32 v[2:3], null, s2, v8, 0
	v_mad_u64_u32 v[4:5], null, s2, v10, 0
	;; [unrolled: 1-line block ×3, first 2 shown]
	v_add_nc_u32_e32 v16, 0x16c, v14
	v_add_co_u32 v0, vcc_lo, v12, v0
	v_add_co_ci_u32_e32 v1, vcc_lo, v13, v1, vcc_lo
	v_mad_u64_u32 v[8:9], null, s3, v8, v[3:4]
	v_mad_u64_u32 v[9:10], null, s3, v10, v[5:6]
	v_mov_b32_e32 v5, v7
	v_mad_u64_u32 v[10:11], null, s2, v16, 0
	global_store_dword v[0:1], v15, off
	v_mov_b32_e32 v3, v8
	v_mad_u64_u32 v[7:8], null, s3, v14, v[5:6]
	v_add_nc_u32_e32 v14, 0x2d8, v14
	v_mov_b32_e32 v5, v9
	v_lshlrev_b64 v[0:1], 2, v[2:3]
	v_mov_b32_e32 v2, v11
	v_mad_u64_u32 v[8:9], null, s2, v14, 0
	v_lshlrev_b64 v[4:5], 2, v[4:5]
	v_mad_u64_u32 v[2:3], null, s3, v16, v[2:3]
	v_add_co_u32 v0, vcc_lo, v12, v0
	v_add_co_ci_u32_e32 v1, vcc_lo, v13, v1, vcc_lo
	v_mov_b32_e32 v3, v9
	v_lshlrev_b64 v[6:7], 2, v[6:7]
	v_mov_b32_e32 v11, v2
	v_add_co_u32 v2, vcc_lo, v12, v4
	v_mad_u64_u32 v[14:15], null, s3, v14, v[3:4]
	v_add_co_ci_u32_e32 v3, vcc_lo, v13, v5, vcc_lo
	v_lshlrev_b64 v[4:5], 2, v[10:11]
	v_add_co_u32 v6, vcc_lo, v12, v6
	v_add_co_ci_u32_e32 v7, vcc_lo, v13, v7, vcc_lo
	v_mov_b32_e32 v9, v14
	v_add_co_u32 v4, vcc_lo, v12, v4
	v_pack_b32_f16 v16, v93, v82
	v_pack_b32_f16 v15, v53, v52
	v_lshlrev_b64 v[8:9], 2, v[8:9]
	v_add_co_ci_u32_e32 v5, vcc_lo, v13, v5, vcc_lo
	v_pack_b32_f16 v10, v46, v25
	v_pack_b32_f16 v11, v24, v17
	v_add_co_u32 v8, vcc_lo, v12, v8
	v_add_co_ci_u32_e32 v9, vcc_lo, v13, v9, vcc_lo
	v_pack_b32_f16 v12, v92, v91
	global_store_dword v[0:1], v16, off
	global_store_dword v[2:3], v15, off
	;; [unrolled: 1-line block ×5, first 2 shown]
.LBB0_37:
	s_endpgm
	.section	.rodata,"a",@progbits
	.p2align	6, 0x0
	.amdhsa_kernel fft_rtc_back_len1092_factors_2_2_13_7_3_wgs_52_tpt_52_halfLds_half_ip_CI_sbrr_dirReg
		.amdhsa_group_segment_fixed_size 0
		.amdhsa_private_segment_fixed_size 0
		.amdhsa_kernarg_size 88
		.amdhsa_user_sgpr_count 6
		.amdhsa_user_sgpr_private_segment_buffer 1
		.amdhsa_user_sgpr_dispatch_ptr 0
		.amdhsa_user_sgpr_queue_ptr 0
		.amdhsa_user_sgpr_kernarg_segment_ptr 1
		.amdhsa_user_sgpr_dispatch_id 0
		.amdhsa_user_sgpr_flat_scratch_init 0
		.amdhsa_user_sgpr_private_segment_size 0
		.amdhsa_wavefront_size32 1
		.amdhsa_uses_dynamic_stack 0
		.amdhsa_system_sgpr_private_segment_wavefront_offset 0
		.amdhsa_system_sgpr_workgroup_id_x 1
		.amdhsa_system_sgpr_workgroup_id_y 0
		.amdhsa_system_sgpr_workgroup_id_z 0
		.amdhsa_system_sgpr_workgroup_info 0
		.amdhsa_system_vgpr_workitem_id 0
		.amdhsa_next_free_vgpr 159
		.amdhsa_next_free_sgpr 23
		.amdhsa_reserve_vcc 1
		.amdhsa_reserve_flat_scratch 0
		.amdhsa_float_round_mode_32 0
		.amdhsa_float_round_mode_16_64 0
		.amdhsa_float_denorm_mode_32 3
		.amdhsa_float_denorm_mode_16_64 3
		.amdhsa_dx10_clamp 1
		.amdhsa_ieee_mode 1
		.amdhsa_fp16_overflow 0
		.amdhsa_workgroup_processor_mode 1
		.amdhsa_memory_ordered 1
		.amdhsa_forward_progress 0
		.amdhsa_shared_vgpr_count 0
		.amdhsa_exception_fp_ieee_invalid_op 0
		.amdhsa_exception_fp_denorm_src 0
		.amdhsa_exception_fp_ieee_div_zero 0
		.amdhsa_exception_fp_ieee_overflow 0
		.amdhsa_exception_fp_ieee_underflow 0
		.amdhsa_exception_fp_ieee_inexact 0
		.amdhsa_exception_int_div_zero 0
	.end_amdhsa_kernel
	.text
.Lfunc_end0:
	.size	fft_rtc_back_len1092_factors_2_2_13_7_3_wgs_52_tpt_52_halfLds_half_ip_CI_sbrr_dirReg, .Lfunc_end0-fft_rtc_back_len1092_factors_2_2_13_7_3_wgs_52_tpt_52_halfLds_half_ip_CI_sbrr_dirReg
                                        ; -- End function
	.section	.AMDGPU.csdata,"",@progbits
; Kernel info:
; codeLenInByte = 18192
; NumSgprs: 25
; NumVgprs: 159
; ScratchSize: 0
; MemoryBound: 0
; FloatMode: 240
; IeeeMode: 1
; LDSByteSize: 0 bytes/workgroup (compile time only)
; SGPRBlocks: 3
; VGPRBlocks: 19
; NumSGPRsForWavesPerEU: 25
; NumVGPRsForWavesPerEU: 159
; Occupancy: 6
; WaveLimiterHint : 1
; COMPUTE_PGM_RSRC2:SCRATCH_EN: 0
; COMPUTE_PGM_RSRC2:USER_SGPR: 6
; COMPUTE_PGM_RSRC2:TRAP_HANDLER: 0
; COMPUTE_PGM_RSRC2:TGID_X_EN: 1
; COMPUTE_PGM_RSRC2:TGID_Y_EN: 0
; COMPUTE_PGM_RSRC2:TGID_Z_EN: 0
; COMPUTE_PGM_RSRC2:TIDIG_COMP_CNT: 0
	.text
	.p2alignl 6, 3214868480
	.fill 48, 4, 3214868480
	.type	__hip_cuid_af2daeb73b705d8a,@object ; @__hip_cuid_af2daeb73b705d8a
	.section	.bss,"aw",@nobits
	.globl	__hip_cuid_af2daeb73b705d8a
__hip_cuid_af2daeb73b705d8a:
	.byte	0                               ; 0x0
	.size	__hip_cuid_af2daeb73b705d8a, 1

	.ident	"AMD clang version 19.0.0git (https://github.com/RadeonOpenCompute/llvm-project roc-6.4.0 25133 c7fe45cf4b819c5991fe208aaa96edf142730f1d)"
	.section	".note.GNU-stack","",@progbits
	.addrsig
	.addrsig_sym __hip_cuid_af2daeb73b705d8a
	.amdgpu_metadata
---
amdhsa.kernels:
  - .args:
      - .actual_access:  read_only
        .address_space:  global
        .offset:         0
        .size:           8
        .value_kind:     global_buffer
      - .offset:         8
        .size:           8
        .value_kind:     by_value
      - .actual_access:  read_only
        .address_space:  global
        .offset:         16
        .size:           8
        .value_kind:     global_buffer
      - .actual_access:  read_only
        .address_space:  global
        .offset:         24
        .size:           8
        .value_kind:     global_buffer
      - .offset:         32
        .size:           8
        .value_kind:     by_value
      - .actual_access:  read_only
        .address_space:  global
        .offset:         40
        .size:           8
        .value_kind:     global_buffer
      - .actual_access:  read_only
        .address_space:  global
        .offset:         48
        .size:           8
        .value_kind:     global_buffer
      - .offset:         56
        .size:           4
        .value_kind:     by_value
      - .actual_access:  read_only
        .address_space:  global
        .offset:         64
        .size:           8
        .value_kind:     global_buffer
      - .actual_access:  read_only
        .address_space:  global
        .offset:         72
        .size:           8
        .value_kind:     global_buffer
      - .address_space:  global
        .offset:         80
        .size:           8
        .value_kind:     global_buffer
    .group_segment_fixed_size: 0
    .kernarg_segment_align: 8
    .kernarg_segment_size: 88
    .language:       OpenCL C
    .language_version:
      - 2
      - 0
    .max_flat_workgroup_size: 52
    .name:           fft_rtc_back_len1092_factors_2_2_13_7_3_wgs_52_tpt_52_halfLds_half_ip_CI_sbrr_dirReg
    .private_segment_fixed_size: 0
    .sgpr_count:     25
    .sgpr_spill_count: 0
    .symbol:         fft_rtc_back_len1092_factors_2_2_13_7_3_wgs_52_tpt_52_halfLds_half_ip_CI_sbrr_dirReg.kd
    .uniform_work_group_size: 1
    .uses_dynamic_stack: false
    .vgpr_count:     159
    .vgpr_spill_count: 0
    .wavefront_size: 32
    .workgroup_processor_mode: 1
amdhsa.target:   amdgcn-amd-amdhsa--gfx1030
amdhsa.version:
  - 1
  - 2
...

	.end_amdgpu_metadata
